;; amdgpu-corpus repo=ROCm/rocFFT kind=compiled arch=gfx950 opt=O3
	.text
	.amdgcn_target "amdgcn-amd-amdhsa--gfx950"
	.amdhsa_code_object_version 6
	.protected	bluestein_single_fwd_len1768_dim1_sp_op_CI_CI ; -- Begin function bluestein_single_fwd_len1768_dim1_sp_op_CI_CI
	.globl	bluestein_single_fwd_len1768_dim1_sp_op_CI_CI
	.p2align	8
	.type	bluestein_single_fwd_len1768_dim1_sp_op_CI_CI,@function
bluestein_single_fwd_len1768_dim1_sp_op_CI_CI: ; @bluestein_single_fwd_len1768_dim1_sp_op_CI_CI
; %bb.0:
	s_load_dwordx4 s[8:11], s[0:1], 0x28
	v_mul_u32_u24_e32 v1, 0x1e2, v0
	v_add_u32_sdwa v248, s2, v1 dst_sel:DWORD dst_unused:UNUSED_PAD src0_sel:DWORD src1_sel:WORD_1
	v_mov_b32_e32 v249, 0
	s_waitcnt lgkmcnt(0)
	v_cmp_gt_u64_e32 vcc, s[8:9], v[248:249]
	s_and_saveexec_b64 s[2:3], vcc
	s_cbranch_execz .LBB0_25
; %bb.1:
	s_load_dwordx2 s[8:9], s[0:1], 0x0
	s_load_dwordx2 s[12:13], s[0:1], 0x38
	s_movk_i32 s2, 0x88
	v_mul_lo_u16_sdwa v1, v1, s2 dst_sel:DWORD dst_unused:UNUSED_PAD src0_sel:WORD_1 src1_sel:DWORD
	v_sub_u16_e32 v244, v0, v1
	s_movk_i32 s2, 0x68
	v_cmp_gt_u16_e32 vcc, s2, v244
	v_lshlrev_b32_e32 v86, 3, v244
	s_and_saveexec_b64 s[14:15], vcc
	s_cbranch_execz .LBB0_3
; %bb.2:
	s_load_dwordx2 s[2:3], s[0:1], 0x18
	v_mov_b32_e32 v0, s10
	v_mov_b32_e32 v1, s11
	;; [unrolled: 1-line block ×4, first 2 shown]
	s_waitcnt lgkmcnt(0)
	s_load_dwordx4 s[4:7], s[2:3], 0x0
	v_lshl_add_u64 v[20:21], s[8:9], 0, v[86:87]
	v_or_b32_e32 v74, 0x680, v244
	v_lshlrev_b32_e32 v38, 3, v74
	s_waitcnt lgkmcnt(0)
	v_mad_u64_u32 v[2:3], s[2:3], s6, v248, 0
	v_mad_u64_u32 v[4:5], s[2:3], s4, v244, 0
	v_mov_b32_e32 v6, v3
	v_mov_b32_e32 v8, v5
	v_mad_u64_u32 v[6:7], s[2:3], s7, v248, v[6:7]
	v_mov_b32_e32 v3, v6
	v_mad_u64_u32 v[6:7], s[2:3], s5, v244, v[8:9]
	v_mov_b32_e32 v5, v6
	v_lshl_add_u64 v[2:3], v[2:3], 3, v[0:1]
	v_lshl_add_u64 v[4:5], v[4:5], 3, v[2:3]
	v_mad_u64_u32 v[6:7], s[2:3], s4, v72, v[4:5]
	s_mul_i32 s6, s5, 0x340
	v_add_u32_e32 v7, s6, v7
	v_mad_u64_u32 v[16:17], s[2:3], s4, v72, v[6:7]
	v_add_u32_e32 v17, s6, v17
	v_mad_u64_u32 v[18:19], s[2:3], s4, v72, v[16:17]
	s_movk_i32 s2, 0x1000
	s_nop 0
	v_add_co_u32_e64 v22, s[2:3], s2, v20
	s_movk_i32 s7, 0x2000
	s_nop 0
	v_addc_co_u32_e64 v23, s[2:3], 0, v21, s[2:3]
	v_add_u32_e32 v19, s6, v19
	v_add_co_u32_e64 v24, s[2:3], s7, v20
	global_load_dwordx2 v[0:1], v[4:5], off
	s_nop 0
	v_addc_co_u32_e64 v25, s[2:3], 0, v21, s[2:3]
	global_load_dwordx2 v[4:5], v[6:7], off
	global_load_dwordx2 v[10:11], v86, s[8:9]
	global_load_dwordx2 v[8:9], v86, s[8:9] offset:832
	s_nop 0
	global_load_dwordx2 v[6:7], v86, s[8:9] offset:1664
	global_load_dwordx2 v[12:13], v86, s[8:9] offset:2496
	;; [unrolled: 1-line block ×3, first 2 shown]
	global_load_dwordx2 v[26:27], v38, s[8:9]
	global_load_dwordx2 v[28:29], v[22:23], off offset:64
	global_load_dwordx2 v[30:31], v[22:23], off offset:896
	global_load_dwordx2 v[32:33], v[22:23], off offset:1728
	global_load_dwordx2 v[34:35], v[22:23], off offset:2560
	global_load_dwordx2 v[36:37], v[16:17], off
	v_mad_u64_u32 v[16:17], s[2:3], s4, v72, v[18:19]
	v_add_u32_e32 v17, s6, v17
	global_load_dwordx2 v[38:39], v[18:19], off
	global_load_dwordx2 v[40:41], v[16:17], off
	v_mad_u64_u32 v[16:17], s[2:3], s4, v72, v[16:17]
	v_add_u32_e32 v17, s6, v17
	global_load_dwordx2 v[18:19], v[16:17], off
	v_mad_u64_u32 v[16:17], s[2:3], s4, v72, v[16:17]
	v_add_u32_e32 v17, s6, v17
	;; [unrolled: 3-line block ×7, first 2 shown]
	global_load_dwordx2 v[52:53], v[22:23], off offset:3392
	global_load_dwordx2 v[54:55], v[16:17], off
	v_mad_u64_u32 v[16:17], s[2:3], s4, v72, v[16:17]
	v_add_u32_e32 v17, s6, v17
	global_load_dwordx2 v[22:23], v[16:17], off
	global_load_dwordx2 v[56:57], v[24:25], off offset:128
	global_load_dwordx2 v[58:59], v[24:25], off offset:960
	;; [unrolled: 1-line block ×3, first 2 shown]
	v_mad_u64_u32 v[16:17], s[2:3], s4, v72, v[16:17]
	s_movk_i32 s2, 0x3000
	v_add_u32_e32 v17, s6, v17
	v_add_co_u32_e64 v20, s[2:3], s2, v20
	global_load_dwordx2 v[62:63], v[16:17], off
	s_nop 0
	v_addc_co_u32_e64 v21, s[2:3], 0, v21, s[2:3]
	v_mad_u64_u32 v[16:17], s[2:3], s4, v72, v[16:17]
	v_add_u32_e32 v17, s6, v17
	global_load_dwordx2 v[66:67], v[24:25], off offset:2624
	global_load_dwordx2 v[68:69], v[16:17], off
	global_load_dwordx2 v[70:71], v[24:25], off offset:3456
	v_mad_u64_u32 v[16:17], s[2:3], s4, v72, v[16:17]
	v_mad_u64_u32 v[64:65], s[2:3], s4, v74, 0
	v_add_u32_e32 v17, s6, v17
	global_load_dwordx2 v[24:25], v[16:17], off
	global_load_dwordx2 v[72:73], v[20:21], off offset:192
	v_mov_b32_e32 v16, v65
	v_mad_u64_u32 v[16:17], s[2:3], s5, v74, v[16:17]
	v_mov_b32_e32 v65, v16
	v_lshl_add_u64 v[2:3], v[64:65], 3, v[2:3]
	global_load_dwordx2 v[2:3], v[2:3], off
	v_add_u32_e32 v20, 0x400, v86
	s_waitcnt vmcnt(31)
	v_mul_f32_e32 v16, v0, v11
	v_fma_f32 v17, v1, v10, -v16
	v_mul_f32_e32 v16, v1, v11
	v_fmac_f32_e32 v16, v0, v10
	s_waitcnt vmcnt(30)
	v_mul_f32_e32 v0, v4, v9
	v_fma_f32 v1, v5, v8, -v0
	v_mul_f32_e32 v0, v5, v9
	v_fmac_f32_e32 v0, v4, v8
	ds_write2_b64 v86, v[16:17], v[0:1] offset1:104
	s_waitcnt vmcnt(21)
	v_mul_f32_e32 v0, v37, v7
	v_mul_f32_e32 v1, v36, v7
	s_waitcnt vmcnt(20)
	v_mul_f32_e32 v4, v39, v13
	v_mul_f32_e32 v5, v38, v13
	v_fmac_f32_e32 v0, v36, v6
	v_fma_f32 v1, v37, v6, -v1
	v_fmac_f32_e32 v4, v38, v12
	v_fma_f32 v5, v39, v12, -v5
	ds_write2_b64 v20, v[0:1], v[4:5] offset0:80 offset1:184
	s_waitcnt vmcnt(19)
	v_mul_f32_e32 v0, v41, v15
	v_mul_f32_e32 v1, v40, v15
	s_waitcnt vmcnt(18)
	v_mul_f32_e32 v4, v19, v29
	v_mul_f32_e32 v5, v18, v29
	v_fmac_f32_e32 v0, v40, v14
	v_fma_f32 v1, v41, v14, -v1
	v_fmac_f32_e32 v4, v18, v28
	v_fma_f32 v5, v19, v28, -v5
	v_add_u32_e32 v6, 0xc00, v86
	ds_write2_b64 v6, v[0:1], v[4:5] offset0:32 offset1:136
	s_waitcnt vmcnt(17)
	v_mul_f32_e32 v0, v43, v31
	v_mul_f32_e32 v1, v42, v31
	s_waitcnt vmcnt(16)
	v_mul_f32_e32 v4, v45, v33
	v_mul_f32_e32 v5, v44, v33
	v_fmac_f32_e32 v0, v42, v30
	v_fma_f32 v1, v43, v30, -v1
	v_fmac_f32_e32 v4, v44, v32
	v_fma_f32 v5, v45, v32, -v5
	v_add_u32_e32 v6, 0x1000, v86
	;; [unrolled: 12-line block ×6, first 2 shown]
	ds_write2_b64 v6, v[0:1], v[4:5] offset0:48 offset1:152
	s_waitcnt vmcnt(0)
	v_mul_f32_e32 v0, v3, v27
	v_mul_f32_e32 v1, v2, v27
	v_fmac_f32_e32 v0, v2, v26
	v_fma_f32 v1, v3, v26, -v1
	ds_write_b64 v86, v[0:1] offset:13312
.LBB0_3:
	s_or_b64 exec, exec, s[14:15]
	s_load_dwordx2 s[2:3], s[0:1], 0x20
	s_load_dwordx2 s[10:11], s[0:1], 0x8
	v_mov_b32_e32 v0, 0
	v_mov_b32_e32 v1, 0
	s_waitcnt lgkmcnt(0)
	s_barrier
	s_waitcnt lgkmcnt(0)
                                        ; implicit-def: $vgpr18
                                        ; implicit-def: $vgpr4
                                        ; implicit-def: $vgpr22
                                        ; implicit-def: $vgpr8
                                        ; implicit-def: $vgpr26
                                        ; implicit-def: $vgpr14
                                        ; implicit-def: $vgpr28
                                        ; implicit-def: $vgpr66
	s_and_saveexec_b64 s[0:1], vcc
	s_cbranch_execz .LBB0_5
; %bb.4:
	v_add_u32_e32 v4, 0x400, v86
	ds_read2_b64 v[28:31], v4 offset0:80 offset1:184
	v_add_u32_e32 v4, 0xc00, v86
	ds_read2_b64 v[24:27], v4 offset0:32 offset1:136
	;; [unrolled: 2-line block ×4, first 2 shown]
	v_add_u32_e32 v4, 0x2000, v86
	v_add_u32_e32 v8, 0x2400, v86
	;; [unrolled: 1-line block ×3, first 2 shown]
	ds_read2_b64 v[0:3], v86 offset1:104
	ds_read2_b64 v[4:7], v4 offset0:16 offset1:120
	ds_read2_b64 v[8:11], v8 offset0:96 offset1:200
	;; [unrolled: 1-line block ×3, first 2 shown]
	ds_read_b64 v[66:67], v86 offset:13312
.LBB0_5:
	s_or_b64 exec, exec, s[0:1]
	s_waitcnt lgkmcnt(0)
	v_pk_add_f32 v[38:39], v[2:3], v[66:67] neg_lo:[0,1] neg_hi:[0,1]
	s_mov_b32 s16, 0xbeb8f4ab
	s_mov_b32 s0, 0x3dbcf732
	v_pk_add_f32 v[32:33], v[66:67], v[2:3]
	s_mov_b32 s4, 0x3f6eb680
	v_pk_mul_f32 v[34:35], v[38:39], s[16:17] op_sel_hi:[1,0]
	v_pk_add_f32 v[40:41], v[28:29], v[14:15] neg_lo:[0,1] neg_hi:[0,1]
	s_mov_b32 s1, 0x3f3d2fb0
	s_mov_b32 s30, 0xbf2c7751
	v_pk_fma_f32 v[70:71], v[32:33], s[4:5], v[34:35] op_sel:[0,0,1] op_sel_hi:[1,0,0]
	v_pk_fma_f32 v[68:69], v[32:33], s[4:5], v[34:35] op_sel:[0,0,1] op_sel_hi:[1,0,0] neg_lo:[0,0,1] neg_hi:[0,0,1]
	v_pk_add_f32 v[36:37], v[14:15], v[28:29]
	s_mov_b32 s34, s1
	v_pk_mul_f32 v[46:47], v[40:41], s[30:31] op_sel_hi:[1,0]
	v_mov_b32_e32 v44, v70
	v_mov_b32_e32 v45, v69
	v_pk_fma_f32 v[72:73], v[36:37], s[34:35], v[46:47] op_sel:[0,0,1] op_sel_hi:[1,0,0]
	v_pk_fma_f32 v[74:75], v[36:37], s[34:35], v[46:47] op_sel:[0,0,1] op_sel_hi:[1,0,0] neg_lo:[0,0,1] neg_hi:[0,0,1]
	s_mov_b32 s38, 0xbf65296c
	v_pk_add_f32 v[42:43], v[30:31], v[12:13] neg_lo:[0,1] neg_hi:[0,1]
	v_pk_add_f32 v[44:45], v[44:45], v[0:1]
	v_mov_b32_e32 v46, v72
	v_mov_b32_e32 v47, v75
	s_mov_b32 s6, 0x3ee437d1
	s_mov_b32 s39, 0x3f06c442
	v_pk_add_f32 v[34:35], v[12:13], v[30:31]
	v_pk_add_f32 v[44:45], v[46:47], v[44:45]
	s_mov_b32 s7, 0xbf59a7d5
	v_pk_mul_f32 v[46:47], v[42:43], s[38:39] op_sel_hi:[1,0]
	s_mov_b32 s28, 0xbf7ee86f
	v_pk_fma_f32 v[76:77], v[34:35], s[6:7], v[46:47] op_sel:[0,0,1] op_sel_hi:[1,0,0]
	v_pk_fma_f32 v[78:79], v[34:35], s[6:7], v[46:47] op_sel:[0,0,1] op_sel_hi:[1,0,0] neg_lo:[0,0,1] neg_hi:[0,0,1]
	v_mov_b32_e32 v46, v76
	v_mov_b32_e32 v47, v79
	v_pk_add_f32 v[52:53], v[24:25], v[10:11] neg_lo:[0,1] neg_hi:[0,1]
	v_pk_add_f32 v[46:47], v[46:47], v[44:45]
	v_pk_add_f32 v[44:45], v[10:11], v[24:25]
	v_pk_mul_f32 v[48:49], v[52:53], s[28:29] op_sel_hi:[1,0]
	s_mov_b32 s14, 0xbe8c1d8e
	v_pk_fma_f32 v[80:81], v[44:45], s[0:1], v[48:49] op_sel:[0,0,1] op_sel_hi:[1,0,0]
	v_pk_fma_f32 v[92:93], v[44:45], s[0:1], v[48:49] op_sel:[0,0,1] op_sel_hi:[1,0,0] neg_lo:[0,0,1] neg_hi:[0,0,1]
	v_mov_b32_e32 v48, v80
	v_mov_b32_e32 v49, v93
	s_mov_b32 s18, 0xbf763a35
	v_pk_add_f32 v[58:59], v[26:27], v[8:9] neg_lo:[0,1] neg_hi:[0,1]
	v_pk_add_f32 v[48:49], v[48:49], v[46:47]
	s_mov_b32 s15, 0xbf1a4643
	v_pk_add_f32 v[46:47], v[8:9], v[26:27]
	v_pk_mul_f32 v[50:51], v[58:59], s[18:19] op_sel_hi:[1,0]
	s_mov_b32 s20, 0xbf4c4adb
	v_pk_fma_f32 v[102:103], v[46:47], s[14:15], v[50:51] op_sel:[0,0,1] op_sel_hi:[1,0,0]
	v_pk_fma_f32 v[104:105], v[46:47], s[14:15], v[50:51] op_sel:[0,0,1] op_sel_hi:[1,0,0] neg_lo:[0,0,1] neg_hi:[0,0,1]
	v_mov_b32_e32 v50, v102
	v_mov_b32_e32 v51, v105
	v_pk_add_f32 v[60:61], v[20:21], v[6:7] neg_lo:[0,1] neg_hi:[0,1]
	v_pk_add_f32 v[48:49], v[50:51], v[48:49]
	s_mov_b32 s36, s15
	v_pk_add_f32 v[50:51], v[6:7], v[20:21]
	v_pk_mul_f32 v[54:55], v[60:61], s[20:21] op_sel_hi:[1,0]
	s_mov_b32 s22, 0xbf06c442
	v_pk_fma_f32 v[106:107], v[50:51], s[36:37], v[54:55] op_sel:[0,0,1] op_sel_hi:[1,0,0]
	v_pk_fma_f32 v[108:109], v[50:51], s[36:37], v[54:55] op_sel:[0,0,1] op_sel_hi:[1,0,0] neg_lo:[0,0,1] neg_hi:[0,0,1]
	v_mov_b32_e32 v54, v106
	v_mov_b32_e32 v55, v109
	;; [unrolled: 10-line block ×4, first 2 shown]
	v_pk_add_f32 v[250:251], v[82:83], v[48:49]
	v_pk_mul_f32 v[48:49], v[38:39], s[38:39] op_sel_hi:[1,0]
	v_pk_mul_f32 v[82:83], v[40:41], s[20:21] op_sel_hi:[1,0]
	v_pk_fma_f32 v[94:95], v[32:33], s[6:7], v[48:49] op_sel:[0,0,1] op_sel_hi:[1,0,0]
	v_pk_fma_f32 v[96:97], v[32:33], s[6:7], v[48:49] op_sel:[0,0,1] op_sel_hi:[1,0,0] neg_lo:[0,0,1] neg_hi:[0,0,1]
	v_mov_b32_e32 v48, v94
	v_mov_b32_e32 v49, v97
	v_pk_fma_f32 v[98:99], v[36:37], s[36:37], v[82:83] op_sel:[0,0,1] op_sel_hi:[1,0,0]
	v_pk_fma_f32 v[100:101], v[36:37], s[36:37], v[82:83] op_sel:[0,0,1] op_sel_hi:[1,0,0] neg_lo:[0,0,1] neg_hi:[0,0,1]
	v_mov_b32_e32 v82, v98
	v_mov_b32_e32 v83, v101
	v_pk_add_f32 v[48:49], v[48:49], v[0:1]
	s_mov_b32 s36, 0x3e3c28d5
	v_pk_add_f32 v[48:49], v[82:83], v[48:49]
	v_pk_mul_f32 v[82:83], v[42:43], s[36:37] op_sel_hi:[1,0]
	s_mov_b32 s36, 0x3f2c7751
	v_pk_fma_f32 v[118:119], v[34:35], s[24:25], v[82:83] op_sel:[0,0,1] op_sel_hi:[1,0,0]
	v_pk_fma_f32 v[120:121], v[34:35], s[24:25], v[82:83] op_sel:[0,0,1] op_sel_hi:[1,0,0] neg_lo:[0,0,1] neg_hi:[0,0,1]
	v_mov_b32_e32 v82, v118
	v_mov_b32_e32 v83, v121
	v_pk_add_f32 v[48:49], v[82:83], v[48:49]
	v_pk_mul_f32 v[82:83], v[52:53], s[42:43] op_sel_hi:[1,0]
	s_mov_b32 s27, s28
	v_pk_fma_f32 v[122:123], v[44:45], s[14:15], v[82:83] op_sel:[0,0,1] op_sel_hi:[1,0,0]
	v_pk_fma_f32 v[124:125], v[44:45], s[14:15], v[82:83] op_sel:[0,0,1] op_sel_hi:[1,0,0] neg_lo:[0,0,1] neg_hi:[0,0,1]
	v_mov_b32_e32 v82, v122
	v_mov_b32_e32 v83, v125
	;; [unrolled: 7-line block ×3, first 2 shown]
	v_pk_add_f32 v[48:49], v[82:83], v[48:49]
	v_pk_mul_f32 v[82:83], v[60:61], s[16:17] op_sel_hi:[1,0]
	v_pk_mul_f32 v[148:149], v[40:41], s[26:27] op_sel:[1,0]
	v_pk_fma_f32 v[130:131], v[50:51], s[4:5], v[82:83] op_sel:[0,0,1] op_sel_hi:[1,0,0]
	v_pk_fma_f32 v[132:133], v[50:51], s[4:5], v[82:83] op_sel:[0,0,1] op_sel_hi:[1,0,0] neg_lo:[0,0,1] neg_hi:[0,0,1]
	v_mov_b32_e32 v82, v130
	v_mov_b32_e32 v83, v133
	v_pk_add_f32 v[48:49], v[82:83], v[48:49]
	v_pk_mul_f32 v[82:83], v[62:63], s[28:29] op_sel_hi:[1,0]
	s_mov_b32 s29, s30
	v_pk_fma_f32 v[134:135], v[54:55], s[0:1], v[82:83] op_sel:[0,0,1] op_sel_hi:[1,0,0]
	v_pk_fma_f32 v[136:137], v[54:55], s[0:1], v[82:83] op_sel:[0,0,1] op_sel_hi:[1,0,0] neg_lo:[0,0,1] neg_hi:[0,0,1]
	v_mov_b32_e32 v82, v134
	v_mov_b32_e32 v83, v137
	v_pk_add_f32 v[48:49], v[82:83], v[48:49]
	v_pk_mul_f32 v[82:83], v[64:65], s[22:23] op_sel_hi:[1,0]
	v_pk_mul_f32 v[146:147], v[38:39], s[28:29] op_sel:[1,0]
	v_pk_fma_f32 v[138:139], v[56:57], s[40:41], v[82:83] op_sel:[0,0,1] op_sel_hi:[1,0,0]
	v_pk_fma_f32 v[140:141], v[56:57], s[40:41], v[82:83] op_sel:[0,0,1] op_sel_hi:[1,0,0] neg_lo:[0,0,1] neg_hi:[0,0,1]
	v_mov_b32_e32 v82, v138
	v_mov_b32_e32 v83, v141
	v_pk_add_f32 v[82:83], v[82:83], v[48:49]
	v_pk_fma_f32 v[48:49], v[32:33], s[0:1], v[146:147] op_sel_hi:[0,1,1]
	s_mov_b32 s43, s20
	v_pk_add_f32 v[48:49], v[48:49], v[0:1] op_sel_hi:[1,0]
	v_pk_fma_f32 v[84:85], v[36:37], s[24:25], v[148:149] op_sel_hi:[0,1,1]
	v_pk_mul_f32 v[150:151], v[42:43], s[42:43] op_sel:[1,0]
	s_mov_b32 s40, 0x3eb8f4ab
	s_mov_b32 s41, s26
	v_pk_add_f32 v[48:49], v[84:85], v[48:49]
	v_pk_fma_f32 v[84:85], v[34:35], s[14:15], v[150:151] op_sel_hi:[0,1,1]
	s_mov_b32 s5, s24
	v_pk_mul_f32 v[152:153], v[52:53], s[40:41] op_sel:[1,0]
	v_pk_add_f32 v[48:49], v[84:85], v[48:49]
	v_pk_fma_f32 v[84:85], v[44:45], s[4:5], v[152:153] op_sel_hi:[0,1,1]
	v_pk_mul_f32 v[154:155], v[58:59], s[38:39] op_sel:[1,0]
	s_mov_b32 s23, s42
	s_mov_b32 s44, 0x3f4c4adb
	v_pk_add_f32 v[48:49], v[84:85], v[48:49]
	v_pk_fma_f32 v[84:85], v[46:47], s[6:7], v[154:155] op_sel_hi:[0,1,1]
	s_mov_b32 s46, s7
	s_mov_b32 s47, s14
	v_pk_mul_f32 v[156:157], v[60:61], s[22:23] op_sel:[1,0]
	s_mov_b32 s45, 0x3f65296c
	v_pk_add_f32 v[48:49], v[84:85], v[48:49]
	v_pk_fma_f32 v[84:85], v[50:51], s[46:47], v[156:157] op_sel_hi:[0,1,1]
	s_mov_b32 s48, s15
	s_mov_b32 s49, s6
	v_pk_mul_f32 v[158:159], v[62:63], s[44:45] op_sel:[1,0]
	;; [unrolled: 6-line block ×3, first 2 shown]
	v_pk_add_f32 v[48:49], v[84:85], v[48:49]
	v_pk_fma_f32 v[84:85], v[56:57], s[50:51], v[142:143] op_sel_hi:[0,1,1]
	v_pk_mul_f32 v[160:161], v[38:39], s[28:29] op_sel_hi:[0,1]
	v_pk_add_f32 v[84:85], v[84:85], v[48:49]
	v_pk_fma_f32 v[48:49], v[32:33], s[0:1], v[160:161] op_sel:[1,0,0] neg_lo:[0,0,1] neg_hi:[0,0,1]
	v_mov_b32_e32 v70, v1
	v_pk_mul_f32 v[162:163], v[40:41], s[26:27] op_sel_hi:[0,1]
	v_pk_add_f32 v[48:49], v[48:49], v[70:71] op_sel_hi:[1,0]
	v_pk_fma_f32 v[144:145], v[36:37], s[24:25], v[162:163] op_sel:[1,0,0] neg_lo:[0,0,1] neg_hi:[0,0,1]
	v_pk_mul_f32 v[164:165], v[42:43], s[42:43] op_sel_hi:[0,1]
	v_pk_add_f32 v[48:49], v[144:145], v[48:49]
	v_pk_fma_f32 v[144:145], v[34:35], s[14:15], v[164:165] op_sel:[1,0,0] neg_lo:[0,0,1] neg_hi:[0,0,1]
	v_pk_mul_f32 v[166:167], v[52:53], s[40:41] op_sel_hi:[0,1]
	v_pk_add_f32 v[48:49], v[144:145], v[48:49]
	;; [unrolled: 3-line block ×5, first 2 shown]
	v_pk_fma_f32 v[144:145], v[54:55], s[48:49], v[172:173] op_sel:[1,0,0] neg_lo:[0,0,1] neg_hi:[0,0,1]
	v_mul_lo_u16_e32 v249, 17, v244
	v_pk_add_f32 v[48:49], v[144:145], v[48:49]
	v_pk_mul_f32 v[144:145], v[64:65], s[36:37] op_sel_hi:[0,1]
	v_pk_fma_f32 v[174:175], v[56:57], s[50:51], v[144:145] op_sel:[1,0,0] neg_lo:[0,0,1] neg_hi:[0,0,1]
	s_nop 0
	v_pk_add_f32 v[48:49], v[174:175], v[48:49]
	s_barrier
	s_and_saveexec_b64 s[34:35], vcc
	s_cbranch_execz .LBB0_7
; %bb.6:
	v_pk_add_f32 v[2:3], v[2:3], v[0:1]
	v_mov_b32_e32 v69, v71
	v_pk_add_f32 v[2:3], v[28:29], v[2:3]
	v_mov_b32_e32 v75, v73
	;; [unrolled: 2-line block ×7, first 2 shown]
	v_pk_add_f32 v[2:3], v[16:17], v[2:3]
	v_pk_mul_f32 v[16:17], v[32:33], s[0:1] op_sel_hi:[0,1]
	v_pk_add_f32 v[2:3], v[18:19], v[2:3]
	v_pk_mul_f32 v[18:19], v[32:33], s[0:1] op_sel:[1,0]
	v_pk_add_f32 v[2:3], v[4:5], v[2:3]
	v_pk_add_f32 v[4:5], v[68:69], v[0:1]
	;; [unrolled: 1-line block ×12, first 2 shown]
	v_mov_b32_e32 v117, v115
	v_pk_add_f32 v[4:5], v[112:113], v[4:5]
	v_pk_add_f32 v[18:19], v[160:161], v[18:19]
	v_pk_mul_f32 v[20:21], v[36:37], s[24:25] op_sel:[1,0]
	v_pk_mul_f32 v[160:161], v[36:37], s[24:25] op_sel_hi:[0,1]
	v_pk_add_f32 v[16:17], v[16:17], v[146:147] neg_lo:[0,1] neg_hi:[0,1]
	v_lshlrev_b32_e32 v87, 3, v249
	v_pk_add_f32 v[2:3], v[66:67], v[2:3]
	v_pk_add_f32 v[4:5], v[116:117], v[4:5]
	;; [unrolled: 1-line block ×3, first 2 shown]
	v_pk_mul_f32 v[22:23], v[34:35], s[14:15] op_sel:[1,0]
	v_pk_mul_f32 v[146:147], v[34:35], s[14:15] op_sel_hi:[0,1]
	v_pk_add_f32 v[148:149], v[160:161], v[148:149] neg_lo:[0,1] neg_hi:[0,1]
	ds_write2_b64 v87, v[2:3], v[4:5] offset1:1
	v_mov_b32_e32 v2, v17
	v_mov_b32_e32 v3, v19
	v_pk_add_f32 v[22:23], v[164:165], v[22:23]
	v_pk_mul_f32 v[24:25], v[44:45], s[4:5] op_sel:[1,0]
	v_pk_mul_f32 v[160:161], v[44:45], s[4:5] op_sel_hi:[0,1]
	v_pk_add_f32 v[146:147], v[146:147], v[150:151] neg_lo:[0,1] neg_hi:[0,1]
	v_pk_add_f32 v[2:3], v[2:3], v[0:1]
	v_mov_b32_e32 v4, v149
	v_mov_b32_e32 v5, v21
	v_pk_add_f32 v[24:25], v[166:167], v[24:25]
	v_pk_mul_f32 v[26:27], v[46:47], s[6:7] op_sel:[1,0]
	v_pk_mul_f32 v[150:151], v[46:47], s[6:7] op_sel_hi:[0,1]
	v_pk_add_f32 v[152:153], v[160:161], v[152:153] neg_lo:[0,1] neg_hi:[0,1]
	v_pk_add_f32 v[2:3], v[4:5], v[2:3]
	;; [unrolled: 7-line block ×4, first 2 shown]
	v_mov_b32_e32 v4, v151
	v_mov_b32_e32 v5, v27
	v_pk_add_f32 v[30:31], v[172:173], v[30:31]
	v_pk_add_f32 v[154:155], v[154:155], v[158:159] neg_lo:[0,1] neg_hi:[0,1]
	v_pk_add_f32 v[2:3], v[4:5], v[2:3]
	v_mov_b32_e32 v4, v157
	v_mov_b32_e32 v5, v29
	v_pk_mul_f32 v[160:161], v[56:57], s[50:51] op_sel_hi:[0,1]
	v_pk_mul_f32 v[158:159], v[56:57], s[50:51] op_sel:[1,0]
	v_pk_add_f32 v[2:3], v[4:5], v[2:3]
	v_mov_b32_e32 v4, v155
	v_mov_b32_e32 v5, v31
	v_pk_add_f32 v[2:3], v[4:5], v[2:3]
	v_mov_b32_e32 v4, v161
	v_mov_b32_e32 v6, v143
	;; [unrolled: 1-line block ×3, first 2 shown]
	v_pk_add_f32 v[4:5], v[4:5], v[6:7] neg_lo:[0,1] neg_hi:[0,1]
	v_pk_add_f32 v[6:7], v[144:145], v[158:159]
	v_mov_b32_e32 v97, v95
	v_mov_b32_e32 v5, v7
	v_pk_add_f32 v[2:3], v[4:5], v[2:3]
	v_pk_add_f32 v[4:5], v[96:97], v[0:1]
	v_mov_b32_e32 v101, v99
	v_pk_add_f32 v[4:5], v[100:101], v[4:5]
	v_mov_b32_e32 v121, v119
	;; [unrolled: 2-line block ×8, first 2 shown]
	ds_write2_b64 v87, v[2:3], v[4:5] offset0:2 offset1:3
	v_pk_add_f32 v[2:3], v[16:17], v[0:1]
	v_mov_b32_e32 v149, v20
	v_pk_add_f32 v[2:3], v[148:149], v[2:3]
	v_mov_b32_e32 v147, v22
	;; [unrolled: 2-line block ×5, first 2 shown]
	v_mov_b32_e32 v5, v144
	v_mov_b32_e32 v7, v158
	v_pk_add_f32 v[2:3], v[156:157], v[2:3]
	v_mov_b32_e32 v155, v30
	v_pk_add_f32 v[8:9], v[160:161], v[142:143] neg_lo:[0,1] neg_hi:[0,1]
	v_pk_add_f32 v[4:5], v[4:5], v[6:7]
	v_pk_add_f32 v[2:3], v[154:155], v[2:3]
	v_mov_b32_e32 v9, v5
	v_pk_mul_f32 v[4:5], v[38:39], s[18:19] op_sel_hi:[1,0]
	v_pk_add_f32 v[68:69], v[8:9], v[2:3]
	s_mov_b32 s46, s39
	v_pk_fma_f32 v[2:3], v[32:33], s[14:15], v[4:5] op_sel:[0,0,1] op_sel_hi:[1,0,0] neg_lo:[0,0,1] neg_hi:[0,0,1]
	v_pk_fma_f32 v[4:5], v[32:33], s[14:15], v[4:5] op_sel:[0,0,1] op_sel_hi:[1,0,0]
	s_mov_b32 s48, s7
	v_pk_mul_f32 v[8:9], v[40:41], s[46:47] op_sel_hi:[1,0]
	v_mov_b32_e32 v6, v2
	v_mov_b32_e32 v7, v5
	v_pk_add_f32 v[10:11], v[6:7], v[0:1]
	v_pk_fma_f32 v[6:7], v[36:37], s[48:49], v[8:9] op_sel:[0,0,1] op_sel_hi:[1,0,0] neg_lo:[0,0,1] neg_hi:[0,0,1]
	v_pk_fma_f32 v[8:9], v[36:37], s[48:49], v[8:9] op_sel:[0,0,1] op_sel_hi:[1,0,0]
	s_mov_b32 s46, s1
	v_pk_mul_f32 v[12:13], v[42:43], s[36:37] op_sel_hi:[1,0]
	v_mov_b32_e32 v14, v6
	v_mov_b32_e32 v15, v9
	v_pk_add_f32 v[14:15], v[14:15], v[10:11]
	v_pk_fma_f32 v[10:11], v[34:35], s[46:47], v[12:13] op_sel:[0,0,1] op_sel_hi:[1,0,0] neg_lo:[0,0,1] neg_hi:[0,0,1]
	v_pk_fma_f32 v[12:13], v[34:35], s[46:47], v[12:13] op_sel:[0,0,1] op_sel_hi:[1,0,0]
	v_pk_mul_f32 v[16:17], v[52:53], s[38:39] op_sel_hi:[1,0]
	v_mov_b32_e32 v18, v10
	v_mov_b32_e32 v19, v13
	v_pk_add_f32 v[18:19], v[18:19], v[14:15]
	v_pk_fma_f32 v[14:15], v[44:45], s[6:7], v[16:17] op_sel:[0,0,1] op_sel_hi:[1,0,0] neg_lo:[0,0,1] neg_hi:[0,0,1]
	v_pk_fma_f32 v[16:17], v[44:45], s[6:7], v[16:17] op_sel:[0,0,1] op_sel_hi:[1,0,0]
	v_pk_mul_f32 v[20:21], v[58:59], s[26:27] op_sel_hi:[1,0]
	v_mov_b32_e32 v22, v14
	v_mov_b32_e32 v23, v17
	s_mov_b32 s50, 0x3f7ee86f
	v_pk_add_f32 v[22:23], v[22:23], v[18:19]
	v_pk_fma_f32 v[18:19], v[46:47], s[24:25], v[20:21] op_sel:[0,0,1] op_sel_hi:[1,0,0] neg_lo:[0,0,1] neg_hi:[0,0,1]
	v_pk_fma_f32 v[20:21], v[46:47], s[24:25], v[20:21] op_sel:[0,0,1] op_sel_hi:[1,0,0]
	v_pk_mul_f32 v[24:25], v[60:61], s[50:51] op_sel_hi:[1,0]
	v_mov_b32_e32 v26, v18
	v_mov_b32_e32 v27, v21
	v_pk_add_f32 v[26:27], v[26:27], v[22:23]
	v_pk_fma_f32 v[22:23], v[50:51], s[0:1], v[24:25] op_sel:[0,0,1] op_sel_hi:[1,0,0] neg_lo:[0,0,1] neg_hi:[0,0,1]
	v_pk_fma_f32 v[24:25], v[50:51], s[0:1], v[24:25] op_sel:[0,0,1] op_sel_hi:[1,0,0]
	v_pk_mul_f32 v[28:29], v[62:63], s[16:17] op_sel_hi:[1,0]
	v_mov_b32_e32 v30, v22
	v_mov_b32_e32 v31, v25
	v_pk_add_f32 v[30:31], v[30:31], v[26:27]
	v_pk_fma_f32 v[26:27], v[54:55], s[4:5], v[28:29] op_sel:[0,0,1] op_sel_hi:[1,0,0] neg_lo:[0,0,1] neg_hi:[0,0,1]
	v_pk_fma_f32 v[28:29], v[54:55], s[4:5], v[28:29] op_sel:[0,0,1] op_sel_hi:[1,0,0]
	s_mov_b32 s38, s15
	v_pk_mul_f32 v[66:67], v[64:65], s[20:21] op_sel_hi:[1,0]
	v_mov_b32_e32 v70, v26
	v_mov_b32_e32 v71, v29
	v_pk_add_f32 v[70:71], v[70:71], v[30:31]
	v_pk_fma_f32 v[30:31], v[56:57], s[38:39], v[66:67] op_sel:[0,0,1] op_sel_hi:[1,0,0] neg_lo:[0,0,1] neg_hi:[0,0,1]
	v_pk_fma_f32 v[66:67], v[56:57], s[38:39], v[66:67] op_sel:[0,0,1] op_sel_hi:[1,0,0]
	v_mov_b32_e32 v72, v30
	v_mov_b32_e32 v73, v67
	v_pk_add_f32 v[70:71], v[72:73], v[70:71]
	ds_write2_b64 v87, v[68:69], v[70:71] offset0:4 offset1:5
	v_pk_mul_f32 v[68:69], v[38:39], s[20:21] op_sel_hi:[1,0]
	v_pk_mul_f32 v[70:71], v[40:41], s[42:43] op_sel_hi:[1,0]
	v_pk_fma_f32 v[94:95], v[32:33], s[38:39], v[68:69] op_sel:[0,0,1] op_sel_hi:[1,0,0] neg_lo:[0,0,1] neg_hi:[0,0,1]
	v_pk_fma_f32 v[68:69], v[32:33], s[38:39], v[68:69] op_sel:[0,0,1] op_sel_hi:[1,0,0]
	v_mov_b32_e32 v96, v94
	v_mov_b32_e32 v97, v69
	v_pk_fma_f32 v[98:99], v[36:37], s[14:15], v[70:71] op_sel:[0,0,1] op_sel_hi:[1,0,0] neg_lo:[0,0,1] neg_hi:[0,0,1]
	v_pk_fma_f32 v[70:71], v[36:37], s[14:15], v[70:71] op_sel:[0,0,1] op_sel_hi:[1,0,0]
	v_pk_mul_f32 v[72:73], v[42:43], s[16:17] op_sel_hi:[1,0]
	v_pk_add_f32 v[96:97], v[96:97], v[0:1]
	v_mov_b32_e32 v100, v98
	v_mov_b32_e32 v101, v71
	v_pk_add_f32 v[96:97], v[100:101], v[96:97]
	v_pk_fma_f32 v[100:101], v[34:35], s[4:5], v[72:73] op_sel:[0,0,1] op_sel_hi:[1,0,0] neg_lo:[0,0,1] neg_hi:[0,0,1]
	v_pk_fma_f32 v[72:73], v[34:35], s[4:5], v[72:73] op_sel:[0,0,1] op_sel_hi:[1,0,0]
	v_pk_mul_f32 v[74:75], v[52:53], s[22:23] op_sel_hi:[1,0]
	v_mov_b32_e32 v102, v100
	v_mov_b32_e32 v103, v73
	v_pk_add_f32 v[96:97], v[102:103], v[96:97]
	v_pk_fma_f32 v[102:103], v[44:45], s[48:49], v[74:75] op_sel:[0,0,1] op_sel_hi:[1,0,0] neg_lo:[0,0,1] neg_hi:[0,0,1]
	v_pk_fma_f32 v[74:75], v[44:45], s[48:49], v[74:75] op_sel:[0,0,1] op_sel_hi:[1,0,0]
	v_pk_mul_f32 v[76:77], v[58:59], s[50:51] op_sel_hi:[1,0]
	;; [unrolled: 6-line block ×4, first 2 shown]
	v_mov_b32_e32 v108, v106
	v_mov_b32_e32 v109, v79
	s_mov_b32 s30, s45
	v_pk_add_f32 v[96:97], v[108:109], v[96:97]
	v_pk_fma_f32 v[108:109], v[54:55], s[24:25], v[80:81] op_sel:[0,0,1] op_sel_hi:[1,0,0] neg_lo:[0,0,1] neg_hi:[0,0,1]
	v_pk_fma_f32 v[80:81], v[54:55], s[24:25], v[80:81] op_sel:[0,0,1] op_sel_hi:[1,0,0]
	v_pk_mul_f32 v[92:93], v[64:65], s[30:31] op_sel_hi:[1,0]
	v_mov_b32_e32 v110, v108
	v_mov_b32_e32 v111, v81
	v_pk_add_f32 v[96:97], v[110:111], v[96:97]
	v_pk_fma_f32 v[110:111], v[56:57], s[6:7], v[92:93] op_sel:[0,0,1] op_sel_hi:[1,0,0] neg_lo:[0,0,1] neg_hi:[0,0,1]
	v_pk_fma_f32 v[92:93], v[56:57], s[6:7], v[92:93] op_sel:[0,0,1] op_sel_hi:[1,0,0]
	v_mov_b32_e32 v112, v110
	v_mov_b32_e32 v113, v93
	v_pk_add_f32 v[96:97], v[112:113], v[96:97]
	v_pk_mul_f32 v[112:113], v[38:39], s[22:23] op_sel_hi:[1,0]
	v_pk_mul_f32 v[114:115], v[40:41], s[30:31] op_sel_hi:[1,0]
	v_pk_fma_f32 v[128:129], v[32:33], s[48:49], v[112:113] op_sel:[0,0,1] op_sel_hi:[1,0,0] neg_lo:[0,0,1] neg_hi:[0,0,1]
	v_pk_fma_f32 v[112:113], v[32:33], s[48:49], v[112:113] op_sel:[0,0,1] op_sel_hi:[1,0,0]
	v_mov_b32_e32 v130, v128
	v_mov_b32_e32 v131, v113
	v_pk_fma_f32 v[132:133], v[36:37], s[6:7], v[114:115] op_sel:[0,0,1] op_sel_hi:[1,0,0] neg_lo:[0,0,1] neg_hi:[0,0,1]
	v_pk_fma_f32 v[114:115], v[36:37], s[6:7], v[114:115] op_sel:[0,0,1] op_sel_hi:[1,0,0]
	v_pk_mul_f32 v[116:117], v[42:43], s[28:29] op_sel_hi:[1,0]
	v_pk_add_f32 v[130:131], v[130:131], v[0:1]
	v_mov_b32_e32 v134, v132
	v_mov_b32_e32 v135, v115
	v_pk_add_f32 v[130:131], v[134:135], v[130:131]
	v_pk_fma_f32 v[134:135], v[34:35], s[0:1], v[116:117] op_sel:[0,0,1] op_sel_hi:[1,0,0] neg_lo:[0,0,1] neg_hi:[0,0,1]
	v_pk_fma_f32 v[116:117], v[34:35], s[0:1], v[116:117] op_sel:[0,0,1] op_sel_hi:[1,0,0]
	v_pk_mul_f32 v[118:119], v[52:53], s[44:45] op_sel_hi:[1,0]
	v_mov_b32_e32 v136, v134
	v_mov_b32_e32 v137, v117
	v_pk_add_f32 v[130:131], v[136:137], v[130:131]
	v_pk_fma_f32 v[136:137], v[44:45], s[38:39], v[118:119] op_sel:[0,0,1] op_sel_hi:[1,0,0] neg_lo:[0,0,1] neg_hi:[0,0,1]
	v_pk_fma_f32 v[118:119], v[44:45], s[38:39], v[118:119] op_sel:[0,0,1] op_sel_hi:[1,0,0]
	v_pk_mul_f32 v[120:121], v[58:59], s[16:17] op_sel_hi:[1,0]
	;; [unrolled: 6-line block ×5, first 2 shown]
	v_mov_b32_e32 v144, v142
	v_mov_b32_e32 v145, v125
	v_pk_add_f32 v[130:131], v[144:145], v[130:131]
	v_pk_fma_f32 v[144:145], v[56:57], s[14:15], v[126:127] op_sel:[0,0,1] op_sel_hi:[1,0,0] neg_lo:[0,0,1] neg_hi:[0,0,1]
	v_pk_fma_f32 v[126:127], v[56:57], s[14:15], v[126:127] op_sel:[0,0,1] op_sel_hi:[1,0,0]
	v_mov_b32_e32 v146, v144
	v_mov_b32_e32 v147, v127
	v_pk_add_f32 v[130:131], v[146:147], v[130:131]
	v_pk_mul_f32 v[38:39], v[38:39], s[26:27] op_sel_hi:[1,0]
	ds_write2_b64 v87, v[96:97], v[130:131] offset0:6 offset1:7
	v_pk_mul_f32 v[40:41], v[40:41], s[40:41] op_sel_hi:[1,0]
	v_pk_fma_f32 v[96:97], v[32:33], s[24:25], v[38:39] op_sel:[0,0,1] op_sel_hi:[1,0,0] neg_lo:[0,0,1] neg_hi:[0,0,1]
	v_pk_fma_f32 v[32:33], v[32:33], s[24:25], v[38:39] op_sel:[0,0,1] op_sel_hi:[1,0,0]
	v_mov_b32_e32 v38, v96
	v_mov_b32_e32 v39, v33
	v_pk_fma_f32 v[130:131], v[36:37], s[4:5], v[40:41] op_sel:[0,0,1] op_sel_hi:[1,0,0] neg_lo:[0,0,1] neg_hi:[0,0,1]
	v_pk_fma_f32 v[36:37], v[36:37], s[4:5], v[40:41] op_sel:[0,0,1] op_sel_hi:[1,0,0]
	v_pk_mul_f32 v[42:43], v[42:43], s[22:23] op_sel_hi:[1,0]
	v_pk_add_f32 v[38:39], v[38:39], v[0:1]
	v_mov_b32_e32 v40, v130
	v_mov_b32_e32 v41, v37
	v_pk_add_f32 v[38:39], v[40:41], v[38:39]
	v_pk_fma_f32 v[40:41], v[34:35], s[48:49], v[42:43] op_sel:[0,0,1] op_sel_hi:[1,0,0] neg_lo:[0,0,1] neg_hi:[0,0,1]
	v_pk_fma_f32 v[34:35], v[34:35], s[48:49], v[42:43] op_sel:[0,0,1] op_sel_hi:[1,0,0]
	v_pk_mul_f32 v[52:53], v[52:53], s[36:37] op_sel_hi:[1,0]
	v_mov_b32_e32 v42, v40
	v_mov_b32_e32 v43, v35
	v_pk_add_f32 v[38:39], v[42:43], v[38:39]
	v_pk_fma_f32 v[42:43], v[44:45], s[46:47], v[52:53] op_sel:[0,0,1] op_sel_hi:[1,0,0] neg_lo:[0,0,1] neg_hi:[0,0,1]
	v_pk_fma_f32 v[44:45], v[44:45], s[46:47], v[52:53] op_sel:[0,0,1] op_sel_hi:[1,0,0]
	v_pk_mul_f32 v[58:59], v[58:59], s[20:21] op_sel_hi:[1,0]
	v_mov_b32_e32 v52, v42
	v_mov_b32_e32 v53, v45
	v_pk_add_f32 v[38:39], v[52:53], v[38:39]
	v_pk_fma_f32 v[52:53], v[46:47], s[38:39], v[58:59] op_sel:[0,0,1] op_sel_hi:[1,0,0] neg_lo:[0,0,1] neg_hi:[0,0,1]
	v_pk_fma_f32 v[46:47], v[46:47], s[38:39], v[58:59] op_sel:[0,0,1] op_sel_hi:[1,0,0]
	v_mov_b32_e32 v33, v97
	v_pk_mul_f32 v[60:61], v[60:61], s[30:31] op_sel_hi:[1,0]
	v_mov_b32_e32 v58, v52
	v_mov_b32_e32 v59, v47
	v_pk_add_f32 v[32:33], v[32:33], v[0:1]
	v_mov_b32_e32 v37, v131
	v_pk_add_f32 v[38:39], v[58:59], v[38:39]
	v_pk_fma_f32 v[58:59], v[50:51], s[6:7], v[60:61] op_sel:[0,0,1] op_sel_hi:[1,0,0] neg_lo:[0,0,1] neg_hi:[0,0,1]
	v_pk_fma_f32 v[50:51], v[50:51], s[6:7], v[60:61] op_sel:[0,0,1] op_sel_hi:[1,0,0]
	v_pk_add_f32 v[32:33], v[36:37], v[32:33]
	v_mov_b32_e32 v35, v41
	v_pk_mul_f32 v[62:63], v[62:63], s[18:19] op_sel_hi:[1,0]
	v_mov_b32_e32 v60, v58
	v_mov_b32_e32 v61, v51
	v_pk_add_f32 v[32:33], v[34:35], v[32:33]
	v_mov_b32_e32 v45, v43
	v_pk_add_f32 v[38:39], v[60:61], v[38:39]
	v_pk_fma_f32 v[60:61], v[54:55], s[14:15], v[62:63] op_sel:[0,0,1] op_sel_hi:[1,0,0] neg_lo:[0,0,1] neg_hi:[0,0,1]
	v_pk_fma_f32 v[54:55], v[54:55], s[14:15], v[62:63] op_sel:[0,0,1] op_sel_hi:[1,0,0]
	v_pk_add_f32 v[32:33], v[44:45], v[32:33]
	;; [unrolled: 10-line block ×3, first 2 shown]
	v_mov_b32_e32 v55, v61
	v_mov_b32_e32 v64, v62
	;; [unrolled: 1-line block ×3, first 2 shown]
	v_pk_add_f32 v[32:33], v[54:55], v[32:33]
	v_mov_b32_e32 v57, v63
	v_pk_add_f32 v[38:39], v[64:65], v[38:39]
	v_pk_add_f32 v[32:33], v[56:57], v[32:33]
	v_mov_b32_e32 v113, v129
	v_mov_b32_e32 v69, v95
	;; [unrolled: 1-line block ×3, first 2 shown]
	ds_write2_b64 v87, v[38:39], v[32:33] offset0:8 offset1:9
	v_pk_add_f32 v[32:33], v[112:113], v[0:1]
	v_pk_add_f32 v[34:35], v[68:69], v[0:1]
	v_pk_add_f32 v[0:1], v[4:5], v[0:1]
	v_mov_b32_e32 v9, v7
	v_mov_b32_e32 v115, v133
	;; [unrolled: 1-line block ×3, first 2 shown]
	v_pk_add_f32 v[0:1], v[8:9], v[0:1]
	v_mov_b32_e32 v13, v11
	v_pk_add_f32 v[32:33], v[114:115], v[32:33]
	v_mov_b32_e32 v117, v135
	;; [unrolled: 2-line block ×19, first 2 shown]
	v_mov_b32_e32 v3, v48
	v_pk_add_f32 v[32:33], v[126:127], v[32:33]
	v_pk_add_f32 v[34:35], v[92:93], v[34:35]
	ds_write2_b64 v87, v[0:1], v[2:3] offset0:12 offset1:13
	v_mov_b32_e32 v0, v85
	v_mov_b32_e32 v1, v49
	ds_write2_b64 v87, v[32:33], v[34:35] offset0:10 offset1:11
	ds_write2_b64 v87, v[82:83], v[0:1] offset0:14 offset1:15
	ds_write_b64 v87, v[250:251] offset:128
.LBB0_7:
	s_or_b64 exec, exec, s[34:35]
	s_movk_i32 s0, 0xf1
	v_mul_lo_u16_sdwa v0, v244, s0 dst_sel:DWORD dst_unused:UNUSED_PAD src0_sel:BYTE_0 src1_sel:DWORD
	v_lshrrev_b16_e32 v87, 12, v0
	v_mul_lo_u16_e32 v0, 17, v87
	v_sub_u16_e32 v0, v244, v0
	v_and_b32_e32 v88, 0xff, v0
	v_mul_u32_u24_e32 v0, 12, v88
	v_lshlrev_b32_e32 v24, 3, v0
	s_load_dwordx4 s[4:7], s[2:3], 0x0
	s_waitcnt lgkmcnt(0)
	s_barrier
	global_load_dwordx4 v[20:23], v24, s[10:11]
	global_load_dwordx4 v[16:19], v24, s[10:11] offset:16
	global_load_dwordx4 v[12:15], v24, s[10:11] offset:32
	;; [unrolled: 1-line block ×5, first 2 shown]
	ds_read2_b64 v[24:27], v86 offset1:136
	ds_read_b64 v[50:51], v86 offset:13056
	v_add_u32_e32 v28, 0x800, v86
	v_add_u32_e32 v32, 0x1000, v86
	;; [unrolled: 1-line block ×5, first 2 shown]
	ds_read2_b64 v[28:31], v28 offset0:16 offset1:152
	ds_read2_b64 v[32:35], v32 offset0:32 offset1:168
	;; [unrolled: 1-line block ×5, first 2 shown]
	s_mov_b32 s2, 0xbeedf032
	s_mov_b32 s0, 0x3f62ad3f
	s_mov_b32 s20, 0xbf52af12
	s_mov_b32 s16, 0xbf6f5d39
	s_mov_b32 s17, s20
	s_mov_b32 s14, 0xbeb58ec6
	s_mov_b32 s34, 0xbf7e222b
	s_mov_b32 s18, 0x3df6dbef
	s_mov_b32 s36, 0x3f29c268
	s_mov_b32 s22, 0xbf3f9e67
	s_mov_b32 s37, 0xbe750f2a
	s_mov_b32 s23, 0xbf788fa5
	s_mov_b32 s24, 0xbf29c268
	s_mov_b32 s30, 0x3eedf032
	s_mov_b32 s31, 0x3f7e222b
	s_mov_b32 s28, s37
	s_mov_b32 s26, s23
	s_mov_b32 s38, 0x3f6f5d39
	s_waitcnt lgkmcnt(0)
	s_barrier
	s_waitcnt vmcnt(5)
	v_pk_mul_f32 v[52:53], v[26:27], v[20:21] op_sel:[0,1]
	v_mov_b32_e32 v54, v23
	s_waitcnt vmcnt(4)
	v_pk_mul_f32 v[56:57], v[30:31], v[16:17] op_sel:[0,1]
	v_mov_b32_e32 v58, v19
	s_waitcnt vmcnt(3)
	v_mov_b32_e32 v62, v15
	s_waitcnt vmcnt(2)
	v_pk_mul_f32 v[64:65], v[38:39], v[8:9] op_sel:[0,1]
	s_waitcnt vmcnt(0)
	v_mov_b32_e32 v74, v3
	v_pk_mul_f32 v[60:61], v[34:35], v[12:13] op_sel:[0,1]
	v_mov_b32_e32 v70, v7
	v_pk_fma_f32 v[76:77], v[26:27], v[20:21], v[52:53] op_sel:[0,0,1] op_sel_hi:[1,1,0] neg_lo:[0,0,1] neg_hi:[0,0,1]
	v_pk_fma_f32 v[26:27], v[26:27], v[20:21], v[52:53] op_sel:[0,0,1] op_sel_hi:[1,0,0]
	v_pk_mul_f32 v[52:53], v[28:29], v[54:55] op_sel_hi:[1,0]
	v_pk_fma_f32 v[78:79], v[30:31], v[16:17], v[56:57] op_sel:[0,0,1] op_sel_hi:[1,1,0] neg_lo:[0,0,1] neg_hi:[0,0,1]
	v_pk_fma_f32 v[30:31], v[30:31], v[16:17], v[56:57] op_sel:[0,0,1] op_sel_hi:[1,0,0]
	v_pk_mul_f32 v[54:55], v[32:33], v[58:59] op_sel_hi:[1,0]
	v_pk_mul_f32 v[58:59], v[36:37], v[62:63] op_sel_hi:[1,0]
	v_pk_fma_f32 v[80:81], v[38:39], v[8:9], v[64:65] op_sel:[0,0,1] op_sel_hi:[1,1,0] neg_lo:[0,0,1] neg_hi:[0,0,1]
	v_pk_fma_f32 v[38:39], v[38:39], v[8:9], v[64:65] op_sel:[0,0,1] op_sel_hi:[1,0,0]
	v_pk_mul_f32 v[64:65], v[50:51], v[74:75] op_sel_hi:[1,0]
	v_pk_mul_f32 v[68:69], v[42:43], v[4:5] op_sel:[0,1]
	v_pk_mul_f32 v[72:73], v[46:47], v[0:1] op_sel:[0,1]
	v_pk_fma_f32 v[56:57], v[34:35], v[12:13], v[60:61] op_sel:[0,0,1] op_sel_hi:[1,1,0] neg_lo:[0,0,1] neg_hi:[0,0,1]
	v_pk_fma_f32 v[34:35], v[34:35], v[12:13], v[60:61] op_sel:[0,0,1] op_sel_hi:[1,0,0]
	v_pk_mul_f32 v[62:63], v[44:45], v[70:71] op_sel_hi:[1,0]
	v_mov_b32_e32 v79, v31
	v_pk_fma_f32 v[94:95], v[36:37], v[14:15], v[58:59] op_sel:[0,0,1] op_sel_hi:[1,1,0] neg_lo:[0,0,1] neg_hi:[0,0,1]
	v_pk_fma_f32 v[30:31], v[36:37], v[14:15], v[58:59] op_sel:[0,0,1] op_sel_hi:[1,0,0]
	v_pk_fma_f32 v[100:101], v[50:51], v[2:3], v[64:65] op_sel:[0,0,1] op_sel_hi:[1,1,0] neg_lo:[0,0,1] neg_hi:[0,0,1]
	v_pk_fma_f32 v[36:37], v[50:51], v[2:3], v[64:65] op_sel:[0,0,1] op_sel_hi:[1,0,0]
	;; [unrolled: 2-line block ×4, first 2 shown]
	v_mov_b32_e32 v77, v27
	v_pk_fma_f32 v[72:73], v[28:29], v[22:23], v[52:53] op_sel:[0,0,1] op_sel_hi:[1,1,0] neg_lo:[0,0,1] neg_hi:[0,0,1]
	v_pk_fma_f32 v[26:27], v[28:29], v[22:23], v[52:53] op_sel:[0,0,1] op_sel_hi:[1,0,0]
	v_mov_b32_e32 v57, v35
	v_pk_fma_f32 v[98:99], v[44:45], v[6:7], v[62:63] op_sel:[0,0,1] op_sel_hi:[1,1,0] neg_lo:[0,0,1] neg_hi:[0,0,1]
	v_pk_fma_f32 v[34:35], v[44:45], v[6:7], v[62:63] op_sel:[0,0,1] op_sel_hi:[1,0,0]
	v_mov_b32_e32 v101, v37
	v_mov_b32_e32 v69, v47
	v_mov_b32_e32 v73, v27
	v_mov_b32_e32 v99, v35
	v_pk_add_f32 v[34:35], v[76:77], v[100:101] neg_lo:[0,1] neg_hi:[0,1]
	v_pk_fma_f32 v[74:75], v[32:33], v[18:19], v[54:55] op_sel:[0,0,1] op_sel_hi:[1,1,0] neg_lo:[0,0,1] neg_hi:[0,0,1]
	v_pk_fma_f32 v[28:29], v[32:33], v[18:19], v[54:55] op_sel:[0,0,1] op_sel_hi:[1,0,0]
	v_mov_b32_e32 v81, v39
	v_mov_b32_e32 v95, v31
	v_pk_add_f32 v[30:31], v[76:77], v[100:101]
	v_pk_add_f32 v[38:39], v[72:73], v[68:69] neg_lo:[0,1] neg_hi:[0,1]
	v_pk_mul_f32 v[26:27], v[34:35], s[2:3] op_sel:[1,0] op_sel_hi:[0,0]
	v_mov_b32_e32 v66, v11
	v_mov_b32_e32 v75, v29
	v_pk_add_f32 v[102:103], v[24:25], v[76:77]
	v_pk_add_f32 v[36:37], v[72:73], v[68:69]
	v_pk_fma_f32 v[76:77], v[30:31], s[0:1], v[26:27] op_sel_hi:[1,0,1]
	v_pk_fma_f32 v[104:105], v[30:31], s[0:1], v[26:27] op_sel_hi:[1,0,1] neg_lo:[0,0,1] neg_hi:[0,0,1]
	s_mov_b32 s2, 0x3f116cb1
	v_pk_mul_f32 v[28:29], v[38:39], s[20:21] op_sel:[1,0] op_sel_hi:[0,0]
	v_pk_mul_f32 v[60:61], v[40:41], v[66:67] op_sel_hi:[1,0]
	v_mov_b32_e32 v26, v76
	v_mov_b32_e32 v27, v105
	v_pk_fma_f32 v[106:107], v[36:37], s[2:3], v[28:29] op_sel_hi:[1,0,1]
	v_pk_fma_f32 v[108:109], v[36:37], s[2:3], v[28:29] op_sel_hi:[1,0,1] neg_lo:[0,0,1] neg_hi:[0,0,1]
	v_pk_fma_f32 v[96:97], v[40:41], v[10:11], v[60:61] op_sel:[0,0,1] op_sel_hi:[1,1,0] neg_lo:[0,0,1] neg_hi:[0,0,1]
	v_pk_fma_f32 v[32:33], v[40:41], v[10:11], v[60:61] op_sel:[0,0,1] op_sel_hi:[1,0,0]
	v_pk_add_f32 v[26:27], v[24:25], v[26:27]
	v_mov_b32_e32 v28, v106
	v_mov_b32_e32 v29, v109
	v_mov_b32_e32 v97, v33
	v_pk_add_f32 v[32:33], v[28:29], v[26:27]
	v_mov_b32_e32 v28, v39
	v_mov_b32_e32 v29, v35
	;; [unrolled: 1-line block ×4, first 2 shown]
	s_mov_b32 s15, s2
	v_pk_mul_f32 v[28:29], v[28:29], s[16:17]
	v_mov_b32_e32 v40, v38
	v_mov_b32_e32 v41, v34
	v_pk_fma_f32 v[110:111], v[26:27], s[14:15], v[28:29] neg_lo:[0,0,1] neg_hi:[0,0,1]
	v_pk_fma_f32 v[26:27], v[26:27], s[14:15], v[28:29]
	v_mov_b32_e32 v28, v37
	v_mov_b32_e32 v29, v31
	v_pk_mul_f32 v[40:41], v[40:41], s[16:17]
	v_pk_add_f32 v[44:45], v[78:79], v[98:99] neg_lo:[0,1] neg_hi:[0,1]
	v_mov_b32_e32 v93, v43
	v_pk_fma_f32 v[112:113], v[28:29], s[14:15], v[40:41]
	v_pk_fma_f32 v[28:29], v[28:29], s[14:15], v[40:41] neg_lo:[0,0,1] neg_hi:[0,0,1]
	v_pk_add_f32 v[42:43], v[78:79], v[98:99]
	v_pk_mul_f32 v[40:41], v[44:45], s[34:35] op_sel:[1,0] op_sel_hi:[0,0]
	v_pk_fma_f32 v[114:115], v[42:43], s[18:19], v[40:41] op_sel_hi:[1,0,1]
	v_pk_fma_f32 v[116:117], v[42:43], s[18:19], v[40:41] op_sel_hi:[1,0,1] neg_lo:[0,0,1] neg_hi:[0,0,1]
	v_pk_add_f32 v[72:73], v[102:103], v[72:73]
	v_mov_b32_e32 v40, v114
	v_mov_b32_e32 v41, v117
	v_pk_add_f32 v[54:55], v[74:75], v[92:93] neg_lo:[0,1] neg_hi:[0,1]
	v_pk_add_f32 v[72:73], v[72:73], v[78:79]
	v_pk_add_f32 v[32:33], v[40:41], v[32:33]
	;; [unrolled: 1-line block ×3, first 2 shown]
	v_pk_mul_f32 v[40:41], v[54:55], s[16:17] op_sel:[1,0] op_sel_hi:[0,0]
	v_pk_add_f32 v[72:73], v[72:73], v[74:75]
	v_pk_fma_f32 v[118:119], v[52:53], s[14:15], v[40:41] op_sel_hi:[1,0,1]
	v_pk_fma_f32 v[120:121], v[52:53], s[14:15], v[40:41] op_sel_hi:[1,0,1] neg_lo:[0,0,1] neg_hi:[0,0,1]
	v_pk_add_f32 v[60:61], v[56:57], v[96:97]
	v_pk_add_f32 v[62:63], v[56:57], v[96:97] neg_lo:[0,1] neg_hi:[0,1]
	v_pk_add_f32 v[56:57], v[72:73], v[56:57]
	v_mov_b32_e32 v40, v118
	v_mov_b32_e32 v41, v121
	v_pk_add_f32 v[56:57], v[56:57], v[94:95]
	v_pk_add_f32 v[46:47], v[40:41], v[32:33]
	v_mov_b32_e32 v40, v55
	v_mov_b32_e32 v41, v45
	v_pk_add_f32 v[56:57], v[56:57], v[80:81]
	v_mov_b32_e32 v32, v52
	v_mov_b32_e32 v33, v42
	v_pk_mul_f32 v[40:41], v[40:41], s[36:37]
	v_mov_b32_e32 v50, v54
	v_mov_b32_e32 v51, v44
	v_pk_add_f32 v[56:57], v[56:57], v[96:97]
	v_pk_fma_f32 v[122:123], v[32:33], s[22:23], v[40:41] neg_lo:[0,0,1] neg_hi:[0,0,1]
	v_pk_fma_f32 v[32:33], v[32:33], s[22:23], v[40:41]
	v_mov_b32_e32 v40, v53
	v_mov_b32_e32 v41, v43
	v_pk_mul_f32 v[50:51], v[50:51], s[36:37]
	v_pk_add_f32 v[66:67], v[94:95], v[80:81] neg_lo:[0,1] neg_hi:[0,1]
	v_pk_add_f32 v[56:57], v[56:57], v[92:93]
	v_pk_fma_f32 v[124:125], v[40:41], s[22:23], v[50:51]
	v_pk_fma_f32 v[40:41], v[40:41], s[22:23], v[50:51] neg_lo:[0,0,1] neg_hi:[0,0,1]
	v_pk_mul_f32 v[50:51], v[62:63], s[24:25] op_sel:[1,0] op_sel_hi:[0,0]
	v_mov_b32_e32 v70, v66
	v_mov_b32_e32 v71, v62
	v_pk_add_f32 v[56:57], v[56:57], v[98:99]
	v_mov_b32_e32 v105, v77
	v_pk_fma_f32 v[126:127], v[60:61], s[22:23], v[50:51] op_sel_hi:[1,0,1]
	v_pk_fma_f32 v[128:129], v[60:61], s[22:23], v[50:51] op_sel_hi:[1,0,1] neg_lo:[0,0,1] neg_hi:[0,0,1]
	v_pk_mul_f32 v[138:139], v[70:71], s[30:31]
	v_pk_mul_f32 v[70:71], v[34:35], s[34:35] op_sel:[1,0] op_sel_hi:[0,0]
	v_pk_add_f32 v[56:57], v[56:57], v[68:69]
	v_pk_add_f32 v[68:69], v[24:25], v[104:105]
	v_mov_b32_e32 v109, v107
	v_mov_b32_e32 v50, v126
	;; [unrolled: 1-line block ×3, first 2 shown]
	v_pk_fma_f32 v[142:143], v[30:31], s[18:19], v[70:71] op_sel_hi:[1,0,1]
	v_pk_fma_f32 v[144:145], v[30:31], s[18:19], v[70:71] op_sel_hi:[1,0,1] neg_lo:[0,0,1] neg_hi:[0,0,1]
	v_pk_mul_f32 v[146:147], v[38:39], s[28:29] op_sel:[1,0] op_sel_hi:[0,0]
	v_pk_add_f32 v[68:69], v[108:109], v[68:69]
	v_mov_b32_e32 v117, v115
	v_pk_add_f32 v[46:47], v[50:51], v[46:47]
	v_pk_add_f32 v[64:65], v[94:95], v[80:81]
	v_pk_mul_f32 v[50:51], v[66:67], s[28:29] op_sel:[1,0] op_sel_hi:[0,0]
	v_mov_b32_e32 v70, v142
	v_mov_b32_e32 v71, v145
	v_pk_fma_f32 v[148:149], v[36:37], s[26:27], v[146:147] op_sel_hi:[1,0,1]
	v_pk_fma_f32 v[146:147], v[36:37], s[26:27], v[146:147] op_sel_hi:[1,0,1] neg_lo:[0,0,1] neg_hi:[0,0,1]
	v_pk_add_f32 v[68:69], v[116:117], v[68:69]
	v_mov_b32_e32 v121, v119
	v_pk_fma_f32 v[130:131], v[64:65], s[26:27], v[50:51] op_sel_hi:[1,0,1]
	v_pk_fma_f32 v[132:133], v[64:65], s[26:27], v[50:51] op_sel_hi:[1,0,1] neg_lo:[0,0,1] neg_hi:[0,0,1]
	v_pk_add_f32 v[70:71], v[24:25], v[70:71]
	v_mov_b32_e32 v150, v148
	v_mov_b32_e32 v151, v147
	v_pk_add_f32 v[68:69], v[120:121], v[68:69]
	v_mov_b32_e32 v129, v127
	v_mov_b32_e32 v51, v133
	v_pk_add_f32 v[70:71], v[150:151], v[70:71]
	v_pk_mul_f32 v[150:151], v[44:45], s[38:39] op_sel:[1,0] op_sel_hi:[0,0]
	v_mul_u32_u24_e32 v76, 0xdd, v87
	v_pk_add_f32 v[68:69], v[128:129], v[68:69]
	v_mov_b32_e32 v133, v131
	v_mov_b32_e32 v50, v130
	;; [unrolled: 1-line block ×4, first 2 shown]
	v_pk_fma_f32 v[152:153], v[42:43], s[14:15], v[150:151] op_sel_hi:[1,0,1]
	v_pk_fma_f32 v[150:151], v[42:43], s[14:15], v[150:151] op_sel_hi:[1,0,1] neg_lo:[0,0,1] neg_hi:[0,0,1]
	v_add_lshl_u32 v245, v76, v88, 3
	v_pk_add_f32 v[56:57], v[56:57], v[100:101]
	v_pk_add_f32 v[68:69], v[132:133], v[68:69]
	;; [unrolled: 1-line block ×3, first 2 shown]
	v_mov_b32_e32 v46, v64
	v_mov_b32_e32 v47, v60
	s_mov_b32 s1, s18
	v_pk_mul_f32 v[58:59], v[58:59], s[30:31]
	v_mov_b32_e32 v154, v152
	v_mov_b32_e32 v155, v151
	ds_write2_b64 v245, v[56:57], v[68:69] offset1:17
	v_mov_b32_e32 v56, v111
	v_mov_b32_e32 v57, v113
	v_pk_fma_f32 v[134:135], v[46:47], s[0:1], v[58:59] neg_lo:[0,0,1] neg_hi:[0,0,1]
	v_pk_fma_f32 v[46:47], v[46:47], s[0:1], v[58:59]
	v_mov_b32_e32 v58, v65
	v_mov_b32_e32 v59, v61
	v_pk_add_f32 v[70:71], v[154:155], v[70:71]
	v_pk_mul_f32 v[154:155], v[54:55], s[30:31] op_sel:[1,0] op_sel_hi:[0,0]
	v_pk_add_f32 v[56:57], v[24:25], v[56:57]
	v_mov_b32_e32 v111, v112
	v_pk_mul_f32 v[136:137], v[58:59], s[0:1]
	v_pk_fma_f32 v[156:157], v[52:53], s[0:1], v[154:155] op_sel_hi:[1,0,1]
	v_pk_fma_f32 v[154:155], v[52:53], s[0:1], v[154:155] op_sel_hi:[1,0,1] neg_lo:[0,0,1] neg_hi:[0,0,1]
	v_pk_add_f32 v[56:57], v[110:111], v[56:57]
	v_mov_b32_e32 v68, v123
	v_mov_b32_e32 v69, v125
	;; [unrolled: 1-line block ×4, first 2 shown]
	v_pk_add_f32 v[56:57], v[68:69], v[56:57]
	v_mov_b32_e32 v69, v138
	v_mov_b32_e32 v73, v136
	v_pk_fma_f32 v[140:141], v[58:59], s[0:1], v[138:139]
	v_pk_add_f32 v[70:71], v[158:159], v[70:71]
	v_pk_mul_f32 v[158:159], v[62:63], s[20:21] op_sel:[1,0] op_sel_hi:[0,0]
	v_pk_add_f32 v[68:69], v[68:69], v[72:73]
	v_mov_b32_e32 v145, v143
	v_pk_fma_f32 v[160:161], v[60:61], s[2:3], v[158:159] op_sel_hi:[1,0,1]
	v_pk_fma_f32 v[158:159], v[60:61], s[2:3], v[158:159] op_sel_hi:[1,0,1] neg_lo:[0,0,1] neg_hi:[0,0,1]
	v_mov_b32_e32 v140, v135
	v_mov_b32_e32 v135, v69
	v_pk_add_f32 v[68:69], v[24:25], v[144:145]
	v_mov_b32_e32 v147, v149
	v_mov_b32_e32 v162, v160
	v_mov_b32_e32 v163, v159
	v_pk_add_f32 v[68:69], v[146:147], v[68:69]
	v_mov_b32_e32 v151, v153
	v_pk_add_f32 v[70:71], v[162:163], v[70:71]
	v_pk_mul_f32 v[162:163], v[66:67], s[24:25] op_sel:[1,0] op_sel_hi:[0,0]
	v_mov_b32_e32 v123, v124
	v_pk_add_f32 v[68:69], v[150:151], v[68:69]
	v_mov_b32_e32 v155, v157
	v_pk_fma_f32 v[164:165], v[64:65], s[22:23], v[162:163] op_sel_hi:[1,0,1]
	v_pk_fma_f32 v[162:163], v[64:65], s[22:23], v[162:163] op_sel_hi:[1,0,1] neg_lo:[0,0,1] neg_hi:[0,0,1]
	v_pk_add_f32 v[56:57], v[122:123], v[56:57]
	v_pk_add_f32 v[68:69], v[154:155], v[68:69]
	v_mov_b32_e32 v159, v161
	v_mov_b32_e32 v167, v163
	v_pk_add_f32 v[56:57], v[140:141], v[56:57]
	v_pk_add_f32 v[68:69], v[158:159], v[68:69]
	v_mov_b32_e32 v163, v165
	v_pk_add_f32 v[56:57], v[134:135], v[56:57]
	v_pk_add_f32 v[68:69], v[162:163], v[68:69]
	ds_write2_b64 v245, v[56:57], v[68:69] offset0:34 offset1:51
	v_pk_mul_f32 v[56:57], v[34:35], s[16:17] op_sel:[1,0] op_sel_hi:[0,0]
	v_pk_fma_f32 v[68:69], v[30:31], s[14:15], v[56:57] op_sel_hi:[1,0,1] neg_lo:[0,0,1] neg_hi:[0,0,1]
	v_pk_fma_f32 v[72:73], v[30:31], s[14:15], v[56:57] op_sel_hi:[1,0,1]
	v_pk_mul_f32 v[76:77], v[38:39], s[36:37] op_sel:[1,0] op_sel_hi:[0,0]
	v_mov_b32_e32 v56, v68
	v_mov_b32_e32 v57, v73
	v_pk_fma_f32 v[80:81], v[36:37], s[22:23], v[76:77] op_sel_hi:[1,0,1] neg_lo:[0,0,1] neg_hi:[0,0,1]
	v_pk_fma_f32 v[76:77], v[36:37], s[22:23], v[76:77] op_sel_hi:[1,0,1]
	v_pk_add_f32 v[56:57], v[24:25], v[56:57]
	v_mov_b32_e32 v92, v80
	v_mov_b32_e32 v93, v77
	v_pk_add_f32 v[56:57], v[92:93], v[56:57]
	v_pk_mul_f32 v[92:93], v[44:45], s[30:31] op_sel:[1,0] op_sel_hi:[0,0]
	v_pk_fma_f32 v[94:95], v[42:43], s[0:1], v[92:93] op_sel_hi:[1,0,1] neg_lo:[0,0,1] neg_hi:[0,0,1]
	v_pk_fma_f32 v[92:93], v[42:43], s[0:1], v[92:93] op_sel_hi:[1,0,1]
	v_mov_b32_e32 v96, v94
	v_mov_b32_e32 v97, v93
	v_pk_add_f32 v[56:57], v[96:97], v[56:57]
	v_pk_mul_f32 v[96:97], v[54:55], s[34:35] op_sel:[1,0] op_sel_hi:[0,0]
	v_pk_fma_f32 v[98:99], v[52:53], s[18:19], v[96:97] op_sel_hi:[1,0,1] neg_lo:[0,0,1] neg_hi:[0,0,1]
	v_pk_fma_f32 v[96:97], v[52:53], s[18:19], v[96:97] op_sel_hi:[1,0,1]
	v_mov_b32_e32 v100, v98
	v_mov_b32_e32 v101, v97
	s_mov_b32 s34, 0x3e750f2a
	v_pk_add_f32 v[56:57], v[100:101], v[56:57]
	v_pk_mul_f32 v[100:101], v[62:63], s[34:35] op_sel:[1,0] op_sel_hi:[0,0]
	v_pk_fma_f32 v[104:105], v[60:61], s[26:27], v[100:101] op_sel_hi:[1,0,1] neg_lo:[0,0,1] neg_hi:[0,0,1]
	v_pk_fma_f32 v[100:101], v[60:61], s[26:27], v[100:101] op_sel_hi:[1,0,1]
	v_mov_b32_e32 v106, v104
	v_mov_b32_e32 v107, v101
	s_mov_b32 s36, 0x3f52af12
	v_pk_add_f32 v[56:57], v[106:107], v[56:57]
	v_pk_mul_f32 v[106:107], v[66:67], s[36:37] op_sel:[1,0] op_sel_hi:[0,0]
	v_pk_fma_f32 v[108:109], v[64:65], s[2:3], v[106:107] op_sel_hi:[1,0,1] neg_lo:[0,0,1] neg_hi:[0,0,1]
	v_pk_fma_f32 v[106:107], v[64:65], s[2:3], v[106:107] op_sel_hi:[1,0,1]
	v_mov_b32_e32 v110, v108
	v_mov_b32_e32 v111, v107
	v_pk_add_f32 v[110:111], v[110:111], v[56:57]
	v_pk_mul_f32 v[56:57], v[34:35], s[24:25] op_sel:[1,0] op_sel_hi:[0,0]
	s_mov_b32 s38, s31
	v_pk_fma_f32 v[112:113], v[30:31], s[22:23], v[56:57] op_sel_hi:[1,0,1] neg_lo:[0,0,1] neg_hi:[0,0,1]
	v_pk_fma_f32 v[56:57], v[30:31], s[22:23], v[56:57] op_sel_hi:[1,0,1]
	v_pk_mul_f32 v[116:117], v[38:39], s[38:39] op_sel:[1,0] op_sel_hi:[0,0]
	v_mov_b32_e32 v114, v112
	v_mov_b32_e32 v115, v57
	v_pk_fma_f32 v[118:119], v[36:37], s[18:19], v[116:117] op_sel_hi:[1,0,1] neg_lo:[0,0,1] neg_hi:[0,0,1]
	v_pk_fma_f32 v[116:117], v[36:37], s[18:19], v[116:117] op_sel_hi:[1,0,1]
	v_pk_add_f32 v[114:115], v[24:25], v[114:115]
	v_mov_b32_e32 v120, v118
	v_mov_b32_e32 v121, v117
	v_pk_add_f32 v[114:115], v[120:121], v[114:115]
	v_pk_mul_f32 v[120:121], v[44:45], s[20:21] op_sel:[1,0] op_sel_hi:[0,0]
	v_mov_b32_e32 v57, v113
	v_pk_fma_f32 v[122:123], v[42:43], s[2:3], v[120:121] op_sel_hi:[1,0,1] neg_lo:[0,0,1] neg_hi:[0,0,1]
	v_pk_fma_f32 v[120:121], v[42:43], s[2:3], v[120:121] op_sel_hi:[1,0,1]
	v_pk_add_f32 v[56:57], v[24:25], v[56:57]
	v_mov_b32_e32 v117, v119
	v_pk_mul_f32 v[112:113], v[54:55], s[34:35] op_sel:[1,0] op_sel_hi:[0,0]
	v_mov_b32_e32 v124, v122
	v_mov_b32_e32 v125, v121
	v_pk_add_f32 v[56:57], v[116:117], v[56:57]
	v_pk_fma_f32 v[116:117], v[52:53], s[26:27], v[112:113] op_sel_hi:[1,0,1] neg_lo:[0,0,1] neg_hi:[0,0,1]
	v_pk_fma_f32 v[112:113], v[52:53], s[26:27], v[112:113] op_sel_hi:[1,0,1]
	v_pk_add_f32 v[114:115], v[124:125], v[114:115]
	v_mov_b32_e32 v118, v116
	v_mov_b32_e32 v119, v113
	;; [unrolled: 1-line block ×3, first 2 shown]
	v_pk_add_f32 v[114:115], v[118:119], v[114:115]
	v_pk_mul_f32 v[118:119], v[62:63], s[30:31] op_sel:[1,0] op_sel_hi:[0,0]
	v_pk_mul_f32 v[102:103], v[66:67], s[16:17] op_sel:[1,0] op_sel_hi:[0,0]
	v_pk_add_f32 v[56:57], v[120:121], v[56:57]
	v_pk_fma_f32 v[120:121], v[60:61], s[0:1], v[118:119] op_sel_hi:[1,0,1] neg_lo:[0,0,1] neg_hi:[0,0,1]
	v_pk_fma_f32 v[118:119], v[60:61], s[0:1], v[118:119] op_sel_hi:[1,0,1]
	v_mov_b32_e32 v113, v117
	v_pk_fma_f32 v[78:79], v[64:65], s[14:15], v[102:103] op_sel_hi:[1,0,1]
	v_pk_fma_f32 v[102:103], v[64:65], s[14:15], v[102:103] op_sel_hi:[1,0,1] neg_lo:[0,0,1] neg_hi:[0,0,1]
	v_mov_b32_e32 v122, v120
	v_mov_b32_e32 v123, v119
	v_pk_add_f32 v[56:57], v[112:113], v[56:57]
	v_mov_b32_e32 v119, v121
	v_mov_b32_e32 v74, v78
	;; [unrolled: 1-line block ×3, first 2 shown]
	v_pk_add_f32 v[114:115], v[122:123], v[114:115]
	v_pk_add_f32 v[56:57], v[118:119], v[56:57]
	v_mov_b32_e32 v103, v79
	v_pk_mul_f32 v[34:35], v[34:35], s[28:29] op_sel:[1,0] op_sel_hi:[0,0]
	v_pk_add_f32 v[78:79], v[102:103], v[114:115]
	v_pk_add_f32 v[56:57], v[74:75], v[56:57]
	v_pk_fma_f32 v[74:75], v[30:31], s[26:27], v[34:35] op_sel_hi:[1,0,1] neg_lo:[0,0,1] neg_hi:[0,0,1]
	v_pk_fma_f32 v[30:31], v[30:31], s[26:27], v[34:35] op_sel_hi:[1,0,1]
	v_pk_mul_f32 v[38:39], v[38:39], s[30:31] op_sel:[1,0] op_sel_hi:[0,0]
	ds_write2_b64 v245, v[110:111], v[78:79] offset0:68 offset1:85
	v_mov_b32_e32 v34, v74
	v_mov_b32_e32 v35, v31
	v_pk_fma_f32 v[78:79], v[36:37], s[0:1], v[38:39] op_sel_hi:[1,0,1] neg_lo:[0,0,1] neg_hi:[0,0,1]
	v_pk_fma_f32 v[36:37], v[36:37], s[0:1], v[38:39] op_sel_hi:[1,0,1]
	v_pk_add_f32 v[34:35], v[24:25], v[34:35]
	v_mov_b32_e32 v38, v78
	v_mov_b32_e32 v39, v37
	v_pk_add_f32 v[34:35], v[38:39], v[34:35]
	v_pk_mul_f32 v[38:39], v[44:45], s[24:25] op_sel:[1,0] op_sel_hi:[0,0]
	v_pk_fma_f32 v[44:45], v[42:43], s[22:23], v[38:39] op_sel_hi:[1,0,1] neg_lo:[0,0,1] neg_hi:[0,0,1]
	v_pk_fma_f32 v[38:39], v[42:43], s[22:23], v[38:39] op_sel_hi:[1,0,1]
	v_mov_b32_e32 v42, v44
	v_mov_b32_e32 v43, v39
	v_pk_add_f32 v[34:35], v[42:43], v[34:35]
	v_pk_mul_f32 v[42:43], v[54:55], s[36:37] op_sel:[1,0] op_sel_hi:[0,0]
	v_pk_fma_f32 v[54:55], v[52:53], s[2:3], v[42:43] op_sel_hi:[1,0,1] neg_lo:[0,0,1] neg_hi:[0,0,1]
	v_pk_fma_f32 v[42:43], v[52:53], s[2:3], v[42:43] op_sel_hi:[1,0,1]
	v_mov_b32_e32 v52, v54
	v_mov_b32_e32 v53, v43
	v_pk_add_f32 v[34:35], v[52:53], v[34:35]
	v_pk_mul_f32 v[52:53], v[62:63], s[16:17] op_sel:[1,0] op_sel_hi:[0,0]
	v_mov_b32_e32 v31, v75
	v_pk_fma_f32 v[62:63], v[60:61], s[14:15], v[52:53] op_sel_hi:[1,0,1] neg_lo:[0,0,1] neg_hi:[0,0,1]
	v_pk_fma_f32 v[52:53], v[60:61], s[14:15], v[52:53] op_sel_hi:[1,0,1]
	v_pk_add_f32 v[30:31], v[24:25], v[30:31]
	v_mov_b32_e32 v37, v79
	v_mov_b32_e32 v60, v62
	;; [unrolled: 1-line block ×3, first 2 shown]
	v_pk_add_f32 v[30:31], v[36:37], v[30:31]
	v_mov_b32_e32 v39, v45
	v_pk_add_f32 v[34:35], v[60:61], v[34:35]
	v_pk_mul_f32 v[60:61], v[66:67], s[38:39] op_sel:[1,0] op_sel_hi:[0,0]
	v_pk_add_f32 v[30:31], v[38:39], v[30:31]
	v_mov_b32_e32 v43, v55
	v_pk_fma_f32 v[66:67], v[64:65], s[18:19], v[60:61] op_sel_hi:[1,0,1] neg_lo:[0,0,1] neg_hi:[0,0,1]
	v_pk_fma_f32 v[60:61], v[64:65], s[18:19], v[60:61] op_sel_hi:[1,0,1]
	v_pk_add_f32 v[30:31], v[42:43], v[30:31]
	v_mov_b32_e32 v53, v63
	v_mov_b32_e32 v64, v66
	;; [unrolled: 1-line block ×3, first 2 shown]
	v_pk_add_f32 v[30:31], v[52:53], v[30:31]
	v_mov_b32_e32 v61, v67
	v_pk_add_f32 v[34:35], v[64:65], v[34:35]
	v_pk_add_f32 v[30:31], v[60:61], v[30:31]
	ds_write2_b64 v245, v[34:35], v[30:31] offset0:102 offset1:119
	v_mov_b32_e32 v73, v69
	v_mov_b32_e32 v34, v27
	v_mov_b32_e32 v35, v29
	v_pk_add_f32 v[30:31], v[24:25], v[72:73]
	v_mov_b32_e32 v77, v81
	v_pk_add_f32 v[24:25], v[24:25], v[34:35]
	v_mov_b32_e32 v27, v28
	;; [unrolled: 2-line block ×4, first 2 shown]
	v_mov_b32_e32 v27, v41
	v_pk_fma_f32 v[58:59], v[58:59], s[0:1], v[138:139] neg_lo:[0,0,1] neg_hi:[0,0,1]
	v_pk_add_f32 v[30:31], v[92:93], v[30:31]
	v_mov_b32_e32 v97, v99
	v_pk_add_f32 v[24:25], v[26:27], v[24:25]
	v_mov_b32_e32 v33, v40
	v_pk_add_f32 v[30:31], v[96:97], v[30:31]
	v_mov_b32_e32 v101, v105
	v_pk_add_f32 v[24:25], v[32:33], v[24:25]
	v_mov_b32_e32 v26, v47
	v_mov_b32_e32 v27, v59
	v_mov_b32_e32 v166, v164
	v_pk_add_f32 v[30:31], v[100:101], v[30:31]
	v_mov_b32_e32 v107, v109
	v_pk_add_f32 v[24:25], v[26:27], v[24:25]
	;; [unrolled: 2-line block ×3, first 2 shown]
	v_pk_add_f32 v[30:31], v[106:107], v[30:31]
	v_pk_add_f32 v[72:73], v[46:47], v[24:25]
	v_add_u32_e32 v24, 0xd00, v86
	ds_write2_b64 v245, v[56:57], v[30:31] offset0:136 offset1:153
	ds_write2_b64 v245, v[70:71], v[72:73] offset0:170 offset1:187
	ds_write_b64 v245, v[50:51] offset:1632
	s_waitcnt lgkmcnt(0)
	s_barrier
	ds_read2_b64 v[74:77], v24 offset0:26 offset1:247
	ds_read2_b64 v[60:63], v86 offset1:221
	v_add_u32_e32 v24, 0x1b00, v86
	ds_read2_b64 v[64:67], v24 offset0:20 offset1:241
	v_add_u32_e32 v24, 0x2900, v86
	ds_read2_b64 v[78:81], v24 offset0:14 offset1:235
	s_movk_i32 s0, 0x55
	s_movk_i32 s2, 0x54
	v_cmp_gt_u16_e64 s[0:1], s0, v244
	v_cmp_lt_u16_e64 s[2:3], s2, v244
                                        ; implicit-def: $vgpr96_vgpr97
	s_and_saveexec_b64 s[14:15], s[2:3]
	s_xor_b64 s[2:3], exec, s[14:15]
; %bb.8:
	v_mov_b32_e32 v96, v30
	v_mov_b32_e32 v97, v72
	;; [unrolled: 1-line block ×3, first 2 shown]
; %bb.9:
	s_andn2_saveexec_b64 s[2:3], s[2:3]
	s_cbranch_execz .LBB0_11
; %bb.10:
	v_add_u32_e32 v24, 0x400, v86
	ds_read2_b64 v[56:59], v24 offset0:8 offset1:229
	v_add_u32_e32 v24, 0x1200, v86
	ds_read2_b64 v[70:73], v24 offset0:2 offset1:223
	;; [unrolled: 2-line block ×4, first 2 shown]
	s_waitcnt lgkmcnt(3)
	v_mov_b32_e32 v96, v58
	s_waitcnt lgkmcnt(2)
	v_mov_b32_e32 v97, v72
	v_mov_b32_e32 v72, v59
	s_waitcnt lgkmcnt(1)
	v_mov_b32_e32 v84, v52
	s_waitcnt lgkmcnt(0)
	v_mov_b32_e32 v85, v48
	v_mov_b32_e32 v48, v53
	v_mov_b64_e32 v[82:83], v[46:47]
.LBB0_11:
	s_or_b64 exec, exec, s[2:3]
	v_mad_u64_u32 v[28:29], s[2:3], v244, 56, s[10:11]
	global_load_dwordx4 v[24:27], v[28:29], off offset:1648
	global_load_dwordx2 v[252:253], v[28:29], off offset:1680
	global_load_dwordx4 v[40:43], v[28:29], off offset:1632
	global_load_dwordx4 v[32:35], v[28:29], off offset:1664
	v_add_u32_e32 v28, 0x88, v244
	v_add_u32_e32 v29, 0xffffffab, v244
	v_cndmask_b32_e64 v28, v29, v28, s[0:1]
	v_mul_hi_i32_i24_e32 v29, 56, v28
	v_mul_i32_i24_e32 v28, 56, v28
	v_lshl_add_u64 v[58:59], s[10:11], 0, v[28:29]
	global_load_dwordx4 v[44:47], v[58:59], off offset:1648
	global_load_dwordx4 v[36:39], v[58:59], off offset:1632
	;; [unrolled: 1-line block ×3, first 2 shown]
	global_load_dwordx2 v[254:255], v[58:59], off offset:1680
	s_waitcnt lgkmcnt(3)
	v_mov_b32_e32 v52, v77
	s_waitcnt lgkmcnt(0)
	v_mov_b32_e32 v54, v81
	s_mov_b32 s2, 0x3f3504f3
	v_add_u32_e32 v28, 0xd00, v86
	s_waitcnt vmcnt(7)
	v_pk_mul_f32 v[58:59], v[76:77], v[24:25]
	v_mov_b32_e32 v68, v25
	s_waitcnt vmcnt(6)
	v_pk_mul_f32 v[98:99], v[80:81], v[252:253]
	v_mov_b32_e32 v100, v253
	s_waitcnt vmcnt(5)
	v_pk_mul_f32 v[102:103], v[62:63], v[40:41] op_sel:[0,1]
	v_mov_b32_e32 v110, v27
	v_pk_mul_f32 v[104:105], v[74:75], v[42:43] op_sel_hi:[1,0]
	v_mov_b32_e32 v106, v43
	v_mov_b32_e32 v108, v43
	s_waitcnt vmcnt(4)
	v_pk_mul_f32 v[112:113], v[66:67], v[32:33] op_sel:[0,1]
	v_pk_mul_f32 v[114:115], v[78:79], v[34:35] op_sel_hi:[1,0]
	v_mov_b32_e32 v116, v35
	v_mov_b32_e32 v118, v35
	;; [unrolled: 1-line block ×3, first 2 shown]
	v_pk_mul_f32 v[58:59], v[76:77], v[68:69]
	v_mov_b32_e32 v55, v98
	v_pk_mul_f32 v[68:69], v[80:81], v[100:101]
	v_pk_fma_f32 v[98:99], v[62:63], v[40:41], v[102:103] op_sel:[0,0,1] op_sel_hi:[1,1,0] neg_lo:[0,0,1] neg_hi:[0,0,1]
	v_pk_fma_f32 v[62:63], v[62:63], v[40:41], v[102:103] op_sel:[0,0,1] op_sel_hi:[1,0,0]
	v_pk_mul_f32 v[102:103], v[64:65], v[110:111] op_sel_hi:[1,0]
	v_pk_fma_f32 v[100:101], v[74:75], v[106:107], v[104:105] op_sel:[0,0,1] op_sel_hi:[1,1,0]
	v_pk_fma_f32 v[74:75], v[74:75], v[108:109], v[104:105] op_sel:[0,0,1] op_sel_hi:[1,0,0] neg_lo:[1,0,0] neg_hi:[1,0,0]
	v_pk_fma_f32 v[104:105], v[66:67], v[32:33], v[112:113] op_sel:[0,0,1] op_sel_hi:[1,1,0] neg_lo:[0,0,1] neg_hi:[0,0,1]
	v_pk_fma_f32 v[66:67], v[66:67], v[32:33], v[112:113] op_sel:[0,0,1] op_sel_hi:[1,0,0]
	v_pk_fma_f32 v[106:107], v[78:79], v[116:117], v[114:115] op_sel:[0,0,1] op_sel_hi:[1,1,0]
	v_pk_fma_f32 v[78:79], v[78:79], v[118:119], v[114:115] op_sel:[0,0,1] op_sel_hi:[1,0,0] neg_lo:[1,0,0] neg_hi:[1,0,0]
	v_pk_fma_f32 v[76:77], v[76:77], v[24:25], v[52:53] neg_lo:[1,0,0] neg_hi:[1,0,0]
	v_pk_fma_f32 v[52:53], v[52:53], v[24:25], v[58:59]
	v_pk_fma_f32 v[58:59], v[80:81], v[252:253], v[54:55] neg_lo:[1,0,0] neg_hi:[1,0,0]
	v_pk_fma_f32 v[54:55], v[54:55], v[252:253], v[68:69]
	v_mov_b32_e32 v99, v63
	v_pk_fma_f32 v[62:63], v[64:65], v[26:27], v[102:103] op_sel:[0,0,1] op_sel_hi:[1,1,0] neg_lo:[0,0,1] neg_hi:[0,0,1]
	v_pk_fma_f32 v[64:65], v[64:65], v[26:27], v[102:103] op_sel:[0,0,1] op_sel_hi:[1,0,0]
	v_mov_b32_e32 v101, v75
	v_mov_b32_e32 v105, v67
	;; [unrolled: 1-line block ×6, first 2 shown]
	v_pk_add_f32 v[64:65], v[100:101], v[106:107] neg_lo:[0,1] neg_hi:[0,1]
	v_pk_add_f32 v[66:67], v[98:99], v[104:105] neg_lo:[0,1] neg_hi:[0,1]
	;; [unrolled: 1-line block ×4, first 2 shown]
	v_pk_fma_f32 v[62:63], v[100:101], 2.0, v[64:65] op_sel_hi:[1,0,1] neg_lo:[0,0,1] neg_hi:[0,0,1]
	v_pk_fma_f32 v[68:69], v[98:99], 2.0, v[66:67] op_sel_hi:[1,0,1] neg_lo:[0,0,1] neg_hi:[0,0,1]
	;; [unrolled: 1-line block ×4, first 2 shown]
	v_pk_add_f32 v[74:75], v[58:59], v[64:65] neg_lo:[0,1] neg_hi:[0,1]
	v_pk_add_f32 v[64:65], v[58:59], v[64:65]
	v_pk_add_f32 v[76:77], v[66:67], v[54:55] neg_lo:[0,1] neg_hi:[0,1]
	v_pk_add_f32 v[54:55], v[66:67], v[54:55]
	v_pk_add_f32 v[78:79], v[60:61], v[62:63] op_sel:[0,1] op_sel_hi:[1,0] neg_lo:[0,1] neg_hi:[0,1]
	v_mov_b32_e32 v75, v65
	v_pk_add_f32 v[52:53], v[68:69], v[52:53] op_sel:[1,0] op_sel_hi:[0,1] neg_lo:[0,1] neg_hi:[0,1]
	v_mov_b32_e32 v77, v55
	v_fma_f32 v54, v60, 2.0, -v78
	v_fma_f32 v55, v61, 2.0, -v79
	v_pk_fma_f32 v[60:61], v[58:59], 2.0, v[74:75] op_sel_hi:[1,0,1] neg_lo:[0,0,1] neg_hi:[0,0,1]
	v_fma_f32 v62, v68, 2.0, -v53
	v_fma_f32 v63, v69, 2.0, -v52
	v_pk_fma_f32 v[64:65], v[66:67], 2.0, v[76:77] op_sel_hi:[1,0,1] neg_lo:[0,0,1] neg_hi:[0,0,1]
	v_pk_add_f32 v[58:59], v[78:79], v[52:53] neg_lo:[0,1] neg_hi:[0,1]
	v_pk_add_f32 v[52:53], v[78:79], v[52:53]
	v_pk_add_f32 v[62:63], v[54:55], v[62:63] neg_lo:[0,1] neg_hi:[0,1]
	v_pk_mul_f32 v[66:67], v[64:65], s[2:3] op_sel_hi:[1,0]
	v_pk_fma_f32 v[80:81], v[64:65], s[2:3], v[60:61] op_sel_hi:[1,0,1] neg_lo:[1,0,0] neg_hi:[1,0,0]
	v_mov_b32_e32 v59, v53
	v_pk_fma_f32 v[52:53], v[54:55], 2.0, v[62:63] op_sel_hi:[1,0,1] neg_lo:[0,0,1] neg_hi:[0,0,1]
	v_pk_add_f32 v[64:65], v[80:81], v[66:67] op_sel:[0,1] op_sel_hi:[1,0] neg_lo:[0,1] neg_hi:[0,1]
	v_pk_add_f32 v[54:55], v[80:81], v[66:67] op_sel:[0,1] op_sel_hi:[1,0]
	v_pk_mul_f32 v[68:69], v[76:77], s[2:3] op_sel_hi:[1,0]
	v_mov_b32_e32 v65, v55
	v_pk_fma_f32 v[76:77], v[76:77], s[2:3], v[74:75] op_sel_hi:[1,0,1]
	v_pk_fma_f32 v[54:55], v[60:61], 2.0, v[64:65] op_sel_hi:[1,0,1] neg_lo:[0,0,1] neg_hi:[0,0,1]
	v_pk_add_f32 v[60:61], v[76:77], v[68:69] op_sel:[0,1] op_sel_hi:[1,0] neg_lo:[0,1] neg_hi:[0,1]
	v_pk_add_f32 v[68:69], v[76:77], v[68:69] op_sel:[0,1] op_sel_hi:[1,0]
	v_pk_fma_f32 v[66:67], v[78:79], 2.0, v[58:59] op_sel_hi:[1,0,1] neg_lo:[0,0,1] neg_hi:[0,0,1]
	v_mov_b32_e32 v61, v69
	v_pk_fma_f32 v[68:69], v[74:75], 2.0, v[60:61] op_sel_hi:[1,0,1] neg_lo:[0,0,1] neg_hi:[0,0,1]
	s_waitcnt vmcnt(2)
	v_pk_mul_f32 v[74:75], v[70:71], v[38:39] op_sel_hi:[0,1]
	v_pk_fma_f32 v[76:77], v[70:71], v[38:39], v[74:75] op_sel:[1,0,1] op_sel_hi:[1,1,0]
	v_pk_fma_f32 v[70:71], v[70:71], v[38:39], v[74:75] op_sel:[1,0,1] op_sel_hi:[1,1,0] neg_lo:[1,0,0] neg_hi:[1,0,0]
	v_mov_b32_e32 v74, v37
	v_mov_b32_e32 v75, v45
	;; [unrolled: 1-line block ×5, first 2 shown]
	v_pk_mul_f32 v[78:79], v[72:73], v[74:75]
	v_pk_mul_f32 v[74:75], v[96:97], v[74:75]
	v_pk_fma_f32 v[78:79], v[96:97], v[70:71], v[78:79] neg_lo:[0,0,1] neg_hi:[0,0,1]
	v_pk_fma_f32 v[70:71], v[72:73], v[70:71], v[74:75]
	v_pk_mul_f32 v[72:73], v[50:51], v[46:47] op_sel:[1,0]
	s_waitcnt vmcnt(1)
	v_mov_b32_e32 v80, v89
	v_pk_fma_f32 v[74:75], v[50:51], v[46:47], v[72:73] op_sel:[0,0,1] op_sel_hi:[1,1,0] neg_lo:[0,0,1] neg_hi:[0,0,1]
	v_pk_fma_f32 v[50:51], v[50:51], v[46:47], v[72:73] op_sel:[0,0,1] op_sel_hi:[0,1,0]
	v_mov_b32_e32 v75, v51
	v_pk_mul_f32 v[50:51], v[82:83], v[90:91] op_sel_hi:[0,1]
	v_pk_fma_f32 v[72:73], v[82:83], v[90:91], v[50:51] op_sel:[1,0,1] op_sel_hi:[1,1,0]
	v_pk_fma_f32 v[50:51], v[82:83], v[90:91], v[50:51] op_sel:[1,0,1] op_sel_hi:[1,1,0] neg_lo:[1,0,0] neg_hi:[1,0,0]
	s_waitcnt vmcnt(0)
	v_mov_b32_e32 v81, v255
	v_mov_b32_e32 v73, v51
	;; [unrolled: 1-line block ×4, first 2 shown]
	v_pk_mul_f32 v[82:83], v[48:49], v[80:81]
	v_pk_mul_f32 v[80:81], v[84:85], v[80:81]
	v_pk_fma_f32 v[82:83], v[84:85], v[50:51], v[82:83] neg_lo:[0,0,1] neg_hi:[0,0,1]
	v_pk_fma_f32 v[48:49], v[48:49], v[50:51], v[80:81]
	v_pk_add_f32 v[72:73], v[76:77], v[72:73] neg_lo:[0,1] neg_hi:[0,1]
	v_pk_add_f32 v[80:81], v[78:79], v[82:83] neg_lo:[0,1] neg_hi:[0,1]
	;; [unrolled: 1-line block ×4, first 2 shown]
	v_pk_fma_f32 v[74:75], v[76:77], 2.0, v[72:73] op_sel_hi:[1,0,1] neg_lo:[0,0,1] neg_hi:[0,0,1]
	v_mov_b32_e32 v76, v70
	v_mov_b32_e32 v77, v78
	v_mov_b32_e32 v82, v48
	v_mov_b32_e32 v83, v80
	v_mov_b32_e32 v78, v71
	v_mov_b32_e32 v70, v49
	v_mov_b32_e32 v71, v81
	v_pk_fma_f32 v[56:57], v[56:57], 2.0, v[50:51] op_sel_hi:[1,0,1] neg_lo:[0,0,1] neg_hi:[0,0,1]
	v_pk_fma_f32 v[76:77], v[76:77], 2.0, v[82:83] op_sel_hi:[1,0,1] neg_lo:[0,0,1] neg_hi:[0,0,1]
	;; [unrolled: 1-line block ×3, first 2 shown]
	v_pk_add_f32 v[84:85], v[56:57], v[74:75] op_sel:[0,1] op_sel_hi:[1,0] neg_lo:[0,1] neg_hi:[0,1]
	v_pk_add_f32 v[96:97], v[50:51], v[72:73] neg_lo:[0,1] neg_hi:[0,1]
	v_pk_add_f32 v[72:73], v[50:51], v[72:73]
	v_pk_add_f32 v[98:99], v[76:77], v[70:71] neg_lo:[0,1] neg_hi:[0,1]
	v_pk_add_f32 v[100:101], v[80:81], v[48:49] op_sel:[0,1] op_sel_hi:[1,0] neg_lo:[0,1] neg_hi:[0,1]
	v_pk_add_f32 v[48:49], v[80:81], v[48:49] op_sel:[0,1] op_sel_hi:[1,0]
	v_pk_fma_f32 v[56:57], v[56:57], 2.0, v[84:85] op_sel_hi:[1,0,1] neg_lo:[0,0,1] neg_hi:[0,0,1]
	v_mov_b32_e32 v97, v73
	v_pk_fma_f32 v[70:71], v[76:77], 2.0, v[98:99] op_sel_hi:[1,0,1] neg_lo:[0,0,1] neg_hi:[0,0,1]
	v_mov_b32_e32 v101, v49
	v_pk_add_f32 v[48:49], v[82:83], v[82:83]
	v_pk_fma_f32 v[50:51], v[50:51], 2.0, v[96:97] op_sel_hi:[1,0,1] neg_lo:[0,0,1] neg_hi:[0,0,1]
	v_pk_add_f32 v[48:49], v[48:49], v[100:101] op_sel:[1,0] op_sel_hi:[0,1] neg_lo:[0,1] neg_hi:[0,1]
	v_pk_add_f32 v[74:75], v[56:57], v[70:71] op_sel:[0,1] op_sel_hi:[1,0] neg_lo:[0,1] neg_hi:[0,1]
	v_pk_add_f32 v[78:79], v[84:85], v[98:99] neg_lo:[0,1] neg_hi:[0,1]
	v_pk_fma_f32 v[70:71], v[56:57], 2.0, v[74:75] op_sel_hi:[1,0,1] neg_lo:[0,0,1] neg_hi:[0,0,1]
	v_pk_mul_f32 v[56:57], v[48:49], s[2:3] op_sel_hi:[1,0]
	v_pk_fma_f32 v[48:49], v[48:49], s[2:3], v[50:51] op_sel_hi:[1,0,1] neg_lo:[1,0,0] neg_hi:[1,0,0]
	ds_write2_b64 v28, v[66:67], v[68:69] offset0:26 offset1:247
	v_pk_add_f32 v[76:77], v[48:49], v[56:57] op_sel:[0,1] op_sel_hi:[1,0] neg_lo:[0,1] neg_hi:[0,1]
	v_pk_add_f32 v[48:49], v[48:49], v[56:57] op_sel:[0,1] op_sel_hi:[1,0]
	v_add_u32_e32 v28, 0x1b00, v86
	v_mov_b32_e32 v77, v49
	v_pk_add_f32 v[48:49], v[84:85], v[98:99]
	v_pk_fma_f32 v[72:73], v[50:51], 2.0, v[76:77] op_sel_hi:[1,0,1] neg_lo:[0,0,1] neg_hi:[0,0,1]
	v_mov_b32_e32 v79, v49
	v_pk_mul_f32 v[48:49], v[100:101], s[2:3] op_sel_hi:[1,0]
	v_pk_fma_f32 v[50:51], v[100:101], s[2:3], v[96:97] op_sel_hi:[1,0,1]
	v_pk_fma_f32 v[82:83], v[84:85], 2.0, v[78:79] op_sel_hi:[1,0,1] neg_lo:[0,0,1] neg_hi:[0,0,1]
	v_pk_add_f32 v[80:81], v[50:51], v[48:49] op_sel:[0,1] op_sel_hi:[1,0] neg_lo:[0,1] neg_hi:[0,1]
	v_pk_add_f32 v[48:49], v[50:51], v[48:49] op_sel:[0,1] op_sel_hi:[1,0]
	ds_write2_b64 v28, v[62:63], v[64:65] offset0:20 offset1:241
	v_mov_b32_e32 v81, v49
	v_pk_fma_f32 v[84:85], v[96:97], 2.0, v[80:81] op_sel_hi:[1,0,1] neg_lo:[0,0,1] neg_hi:[0,0,1]
	v_add_u32_e32 v28, 0x2900, v86
	ds_write2_b64 v86, v[52:53], v[54:55] offset1:221
	ds_write2_b64 v28, v[58:59], v[60:61] offset0:14 offset1:235
	s_and_saveexec_b64 s[2:3], s[0:1]
	s_cbranch_execz .LBB0_13
; %bb.12:
	v_add_u32_e32 v28, 0x400, v86
	ds_write2_b64 v28, v[70:71], v[72:73] offset0:8 offset1:229
	v_add_u32_e32 v28, 0x1200, v86
	ds_write2_b64 v28, v[82:83], v[84:85] offset0:2 offset1:223
	;; [unrolled: 2-line block ×4, first 2 shown]
.LBB0_13:
	s_or_b64 exec, exec, s[2:3]
	s_waitcnt lgkmcnt(0)
	s_barrier
	s_and_saveexec_b64 s[10:11], vcc
	s_cbranch_execz .LBB0_15
; %bb.14:
	s_add_u32 s14, s8, 0x3740
	s_addc_u32 s15, s9, 0
	global_load_dwordx2 v[48:49], v86, s[14:15]
	v_mov_b32_e32 v87, 0
	s_movk_i32 s2, 0x1000
	v_lshl_add_u64 v[50:51], s[14:15], 0, v[86:87]
	v_add_co_u32_e64 v96, s[2:3], s2, v50
	global_load_dwordx2 v[56:57], v86, s[14:15] offset:832
	global_load_dwordx2 v[112:113], v86, s[14:15] offset:1664
	;; [unrolled: 1-line block ×4, first 2 shown]
	v_addc_co_u32_e64 v97, s[2:3], 0, v51, s[2:3]
	global_load_dwordx2 v[118:119], v[96:97], off offset:64
	global_load_dwordx2 v[120:121], v[96:97], off offset:896
	;; [unrolled: 1-line block ×5, first 2 shown]
	s_movk_i32 s2, 0x2000
	v_add_co_u32_e64 v96, s[2:3], s2, v50
	v_or_b32_e32 v87, 0x3400, v86
	s_nop 0
	v_addc_co_u32_e64 v97, s[2:3], 0, v51, s[2:3]
	global_load_dwordx2 v[128:129], v[96:97], off offset:128
	global_load_dwordx2 v[130:131], v[96:97], off offset:960
	;; [unrolled: 1-line block ×5, first 2 shown]
	s_movk_i32 s2, 0x3000
	v_add_co_u32_e64 v50, s[2:3], s2, v50
	ds_read_b64 v[98:99], v86
	s_nop 0
	v_addc_co_u32_e64 v51, s[2:3], 0, v51, s[2:3]
	global_load_dwordx2 v[138:139], v[50:51], off offset:192
	global_load_dwordx2 v[140:141], v87, s[14:15]
	v_add_u32_e32 v28, 0x800, v86
	v_add_u32_e32 v29, 0x1000, v86
	;; [unrolled: 1-line block ×4, first 2 shown]
	s_waitcnt vmcnt(16) lgkmcnt(0)
	v_mul_f32_e32 v50, v99, v49
	v_mul_f32_e32 v51, v98, v49
	v_fma_f32 v50, v98, v48, -v50
	v_fmac_f32_e32 v51, v99, v48
	ds_write_b64 v86, v[50:51]
	ds_read2_b64 v[48:51], v86 offset0:104 offset1:208
	ds_read2_b64 v[96:99], v28 offset0:56 offset1:160
	ds_read2_b64 v[100:103], v29 offset0:8 offset1:112
	ds_read2_b64 v[104:107], v30 offset0:88 offset1:192
	ds_read2_b64 v[108:111], v31 offset0:40 offset1:144
	s_waitcnt vmcnt(15) lgkmcnt(4)
	v_mul_f32_e32 v87, v49, v57
	v_mul_f32_e32 v143, v48, v57
	s_waitcnt vmcnt(14)
	v_mul_f32_e32 v92, v51, v113
	v_mul_f32_e32 v57, v50, v113
	s_waitcnt vmcnt(13) lgkmcnt(3)
	v_mul_f32_e32 v93, v97, v115
	v_mul_f32_e32 v113, v96, v115
	s_waitcnt vmcnt(12)
	v_mul_f32_e32 v94, v99, v117
	v_mul_f32_e32 v115, v98, v117
	s_waitcnt vmcnt(11) lgkmcnt(2)
	v_mul_f32_e32 v95, v101, v119
	v_mul_f32_e32 v117, v100, v119
	s_waitcnt vmcnt(10)
	v_mul_f32_e32 v144, v103, v121
	v_mul_f32_e32 v119, v102, v121
	s_waitcnt vmcnt(9) lgkmcnt(1)
	v_mul_f32_e32 v145, v105, v123
	v_mul_f32_e32 v121, v104, v123
	s_waitcnt vmcnt(8)
	v_mul_f32_e32 v146, v107, v125
	v_mul_f32_e32 v123, v106, v125
	v_fma_f32 v142, v48, v56, -v87
	v_fmac_f32_e32 v143, v49, v56
	v_fma_f32 v56, v50, v112, -v92
	v_fmac_f32_e32 v57, v51, v112
	;; [unrolled: 2-line block ×8, first 2 shown]
	ds_write2_b64 v86, v[142:143], v[56:57] offset0:104 offset1:208
	ds_write2_b64 v28, v[112:113], v[114:115] offset0:56 offset1:160
	;; [unrolled: 1-line block ×4, first 2 shown]
	v_add_u32_e32 v28, 0x2000, v86
	ds_read2_b64 v[48:51], v28 offset0:120 offset1:224
	s_waitcnt vmcnt(7) lgkmcnt(5)
	v_mul_f32_e32 v147, v109, v127
	v_mul_f32_e32 v125, v108, v127
	s_waitcnt vmcnt(6)
	v_mul_f32_e32 v127, v111, v129
	v_mul_f32_e32 v57, v110, v129
	v_fma_f32 v124, v108, v126, -v147
	v_fmac_f32_e32 v125, v109, v126
	v_fma_f32 v56, v110, v128, -v127
	v_fmac_f32_e32 v57, v111, v128
	v_add_u32_e32 v30, 0x2800, v86
	ds_write2_b64 v31, v[124:125], v[56:57] offset0:40 offset1:144
	s_waitcnt vmcnt(5) lgkmcnt(1)
	v_mul_f32_e32 v29, v49, v131
	v_mul_f32_e32 v57, v48, v131
	ds_read2_b64 v[96:99], v30 offset0:72 offset1:176
	v_fma_f32 v56, v48, v130, -v29
	v_fmac_f32_e32 v57, v49, v130
	s_waitcnt vmcnt(4)
	v_mul_f32_e32 v29, v51, v133
	v_mul_f32_e32 v49, v50, v133
	v_fma_f32 v48, v50, v132, -v29
	v_fmac_f32_e32 v49, v51, v132
	v_add_u32_e32 v29, 0x3000, v86
	ds_write2_b64 v28, v[56:57], v[48:49] offset0:120 offset1:224
	ds_read2_b64 v[48:51], v29 offset0:24 offset1:128
	s_waitcnt vmcnt(3) lgkmcnt(2)
	v_mul_f32_e32 v28, v97, v135
	v_mul_f32_e32 v57, v96, v135
	v_fma_f32 v56, v96, v134, -v28
	v_fmac_f32_e32 v57, v97, v134
	s_waitcnt vmcnt(2)
	v_mul_f32_e32 v28, v99, v137
	v_mul_f32_e32 v97, v98, v137
	v_fma_f32 v96, v98, v136, -v28
	v_fmac_f32_e32 v97, v99, v136
	ds_write2_b64 v30, v[56:57], v[96:97] offset0:72 offset1:176
	s_waitcnt vmcnt(1) lgkmcnt(1)
	v_mul_f32_e32 v28, v49, v139
	v_mul_f32_e32 v57, v48, v139
	v_fma_f32 v56, v48, v138, -v28
	v_fmac_f32_e32 v57, v49, v138
	s_waitcnt vmcnt(0)
	v_mul_f32_e32 v28, v51, v141
	v_mul_f32_e32 v49, v50, v141
	v_fma_f32 v48, v50, v140, -v28
	v_fmac_f32_e32 v49, v51, v140
	ds_write2_b64 v29, v[56:57], v[48:49] offset0:24 offset1:128
.LBB0_15:
	s_or_b64 exec, exec, s[10:11]
	s_waitcnt lgkmcnt(0)
	s_barrier
	s_and_saveexec_b64 s[2:3], vcc
	s_cbranch_execz .LBB0_17
; %bb.16:
	v_add_u32_e32 v28, 0x400, v86
	ds_read2_b64 v[66:69], v28 offset0:80 offset1:184
	v_add_u32_e32 v28, 0xc00, v86
	ds_read2_b64 v[62:65], v28 offset0:32 offset1:136
	;; [unrolled: 2-line block ×6, first 2 shown]
	v_add_u32_e32 v28, 0x2c00, v86
	ds_read2_b64 v[52:55], v86 offset1:104
	ds_read2_b64 v[78:81], v28 offset0:48 offset1:152
	ds_read_b64 v[250:251], v86 offset:13312
.LBB0_17:
	s_or_b64 exec, exec, s[2:3]
	s_waitcnt lgkmcnt(1)
	v_pk_add_f32 v[48:49], v[66:67], v[80:81] neg_lo:[0,1] neg_hi:[0,1]
	v_pk_add_f32 v[132:133], v[66:67], v[80:81]
	v_mov_b32_e32 v97, v48
	v_mov_b32_e32 v96, v132
	v_mov_b32_e32 v132, v49
	v_pk_add_f32 v[48:49], v[68:69], v[78:79] neg_lo:[0,1] neg_hi:[0,1]
	v_pk_add_f32 v[134:135], v[68:69], v[78:79]
	v_mov_b32_e32 v99, v48
	v_mov_b32_e32 v98, v134
	v_mov_b32_e32 v134, v49
	;; [unrolled: 5-line block ×3, first 2 shown]
	v_pk_add_f32 v[48:49], v[64:65], v[74:75] neg_lo:[0,1] neg_hi:[0,1]
	v_pk_add_f32 v[138:139], v[64:65], v[74:75]
	s_waitcnt lgkmcnt(0)
	v_pk_add_f32 v[128:129], v[250:251], v[54:55]
	v_pk_add_f32 v[130:131], v[54:55], v[250:251] neg_lo:[0,1] neg_hi:[0,1]
	v_mov_b32_e32 v102, v138
	v_mov_b32_e32 v103, v48
	;; [unrolled: 1-line block ×3, first 2 shown]
	v_pk_add_f32 v[48:49], v[58:59], v[84:85] neg_lo:[0,1] neg_hi:[0,1]
	v_pk_add_f32 v[140:141], v[58:59], v[84:85]
	s_mov_b32 s48, 0xbf2c7751
	v_mov_b32_e32 v104, v140
	v_mov_b32_e32 v105, v48
	;; [unrolled: 1-line block ×3, first 2 shown]
	v_pk_add_f32 v[48:49], v[60:61], v[82:83] neg_lo:[0,1] neg_hi:[0,1]
	v_pk_add_f32 v[142:143], v[60:61], v[82:83]
	v_mov_b32_e32 v56, v131
	v_mov_b32_e32 v57, v129
	s_mov_b32 s49, 0x3f3d2fb0
	s_mov_b32 s42, 0xbf7ee86f
	v_mov_b32_e32 v106, v142
	v_mov_b32_e32 v107, v48
	;; [unrolled: 1-line block ×3, first 2 shown]
	v_pk_add_f32 v[48:49], v[70:71], v[72:73] neg_lo:[0,1] neg_hi:[0,1]
	v_pk_add_f32 v[144:145], v[70:71], v[72:73]
	v_pk_mul_f32 v[146:147], v[56:57], s[48:49]
	v_mov_b32_e32 v198, v128
	v_mov_b32_e32 v199, v130
	s_mov_b32 s2, s49
	s_mov_b32 s3, s48
	;; [unrolled: 1-line block ×3, first 2 shown]
	v_mov_b32_e32 v108, v144
	v_mov_b32_e32 v109, v48
	;; [unrolled: 1-line block ×3, first 2 shown]
	v_pk_fma_f32 v[48:49], v[198:199], s[2:3], v[146:147] neg_lo:[0,0,1] neg_hi:[0,0,1]
	v_pk_fma_f32 v[148:149], v[198:199], s[2:3], v[146:147]
	v_pk_mul_f32 v[150:151], v[132:133], s[42:43]
	s_mov_b32 s10, s43
	s_mov_b32 s11, s42
	;; [unrolled: 1-line block ×3, first 2 shown]
	v_mov_b32_e32 v49, v149
	v_pk_fma_f32 v[50:51], v[96:97], s[10:11], v[150:151] neg_lo:[0,0,1] neg_hi:[0,0,1]
	v_pk_fma_f32 v[152:153], v[96:97], s[10:11], v[150:151]
	s_mov_b32 s37, 0xbf1a4643
	v_pk_add_f32 v[48:49], v[52:53], v[48:49]
	v_mov_b32_e32 v51, v153
	v_pk_mul_f32 v[154:155], v[134:135], s[36:37]
	s_mov_b32 s14, s37
	s_mov_b32 s15, s36
	s_mov_b32 s38, 0xbe3c28d5
	v_pk_add_f32 v[48:49], v[50:51], v[48:49]
	v_pk_fma_f32 v[50:51], v[98:99], s[14:15], v[154:155] neg_lo:[0,0,1] neg_hi:[0,0,1]
	v_pk_fma_f32 v[156:157], v[98:99], s[14:15], v[154:155]
	s_mov_b32 s39, 0xbf7ba420
	v_mov_b32_e32 v51, v157
	v_pk_mul_f32 v[158:159], v[136:137], s[38:39]
	s_mov_b32 s16, s39
	s_mov_b32 s17, s38
	s_mov_b32 s50, 0x3f06c442
	v_pk_add_f32 v[48:49], v[50:51], v[48:49]
	v_pk_fma_f32 v[50:51], v[100:101], s[16:17], v[158:159] neg_lo:[0,0,1] neg_hi:[0,0,1]
	v_pk_fma_f32 v[160:161], v[100:101], s[16:17], v[158:159]
	s_mov_b32 s51, 0xbf59a7d5
	;; [unrolled: 9-line block ×5, first 2 shown]
	v_mov_b32_e32 v51, v173
	v_pk_mul_f32 v[174:175], v[144:145], s[46:47]
	s_mov_b32 s40, s47
	s_mov_b32 s41, s46
	v_pk_add_f32 v[48:49], v[50:51], v[48:49]
	v_pk_fma_f32 v[50:51], v[108:109], s[40:41], v[174:175] neg_lo:[0,0,1] neg_hi:[0,0,1]
	v_pk_fma_f32 v[176:177], v[108:109], s[40:41], v[174:175]
	s_mov_b32 s66, 0xbf65296c
	s_mov_b32 s67, s45
	v_mov_b32_e32 v51, v177
	v_pk_mul_f32 v[178:179], v[56:57], s[66:67]
	s_mov_b32 s18, s45
	s_mov_b32 s19, s66
	v_pk_add_f32 v[50:51], v[50:51], v[48:49]
	v_pk_fma_f32 v[48:49], v[198:199], s[18:19], v[178:179] neg_lo:[0,0,1] neg_hi:[0,0,1]
	v_pk_fma_f32 v[180:181], v[198:199], s[18:19], v[178:179]
	v_pk_mul_f32 v[184:185], v[132:133], s[36:37]
	v_mov_b32_e32 v49, v181
	v_pk_fma_f32 v[110:111], v[96:97], s[14:15], v[184:185] neg_lo:[0,0,1] neg_hi:[0,0,1]
	v_pk_fma_f32 v[182:183], v[96:97], s[14:15], v[184:185]
	s_mov_b32 s24, 0x3e3c28d5
	s_mov_b32 s25, s39
	v_pk_add_f32 v[48:49], v[52:53], v[48:49]
	v_mov_b32_e32 v111, v183
	v_pk_mul_f32 v[186:187], v[134:135], s[24:25]
	s_mov_b32 s52, s39
	s_mov_b32 s53, s24
	v_pk_add_f32 v[48:49], v[110:111], v[48:49]
	v_pk_fma_f32 v[110:111], v[98:99], s[52:53], v[186:187] neg_lo:[0,0,1] neg_hi:[0,0,1]
	v_pk_fma_f32 v[188:189], v[98:99], s[52:53], v[186:187]
	v_pk_mul_f32 v[192:193], v[136:137], s[60:61]
	v_mov_b32_e32 v111, v189
	v_pk_add_f32 v[48:49], v[110:111], v[48:49]
	v_pk_fma_f32 v[110:111], v[100:101], s[26:27], v[192:193] neg_lo:[0,0,1] neg_hi:[0,0,1]
	v_pk_fma_f32 v[190:191], v[100:101], s[26:27], v[192:193]
	s_mov_b32 s56, 0x3f2c7751
	s_mov_b32 s57, s49
	v_mov_b32_e32 v111, v191
	v_pk_mul_f32 v[194:195], v[138:139], s[56:57]
	s_mov_b32 s30, s49
	s_mov_b32 s31, s56
	v_pk_add_f32 v[48:49], v[110:111], v[48:49]
	v_pk_fma_f32 v[110:111], v[102:103], s[30:31], v[194:195] neg_lo:[0,0,1] neg_hi:[0,0,1]
	v_pk_fma_f32 v[196:197], v[102:103], s[30:31], v[194:195]
	s_mov_b32 s62, 0xbeb8f4ab
	s_mov_b32 s63, s47
	v_mov_b32_e32 v111, v197
	v_pk_mul_f32 v[200:201], v[140:141], s[62:63]
	s_mov_b32 s28, s47
	s_mov_b32 s29, s62
	v_pk_add_f32 v[48:49], v[110:111], v[48:49]
	v_pk_fma_f32 v[110:111], v[104:105], s[28:29], v[200:201] neg_lo:[0,0,1] neg_hi:[0,0,1]
	v_pk_fma_f32 v[202:203], v[104:105], s[28:29], v[200:201]
	v_pk_mul_f32 v[206:207], v[142:143], s[42:43]
	v_mov_b32_e32 v111, v203
	v_pk_add_f32 v[48:49], v[110:111], v[48:49]
	v_pk_fma_f32 v[110:111], v[106:107], s[10:11], v[206:207] neg_lo:[0,0,1] neg_hi:[0,0,1]
	v_pk_fma_f32 v[204:205], v[106:107], s[10:11], v[206:207]
	s_mov_b32 s58, 0xbf06c442
	s_mov_b32 s59, s51
	v_mov_b32_e32 v111, v205
	v_pk_mul_f32 v[216:217], v[144:145], s[58:59]
	s_mov_b32 s24, s51
	s_mov_b32 s25, s58
	v_pk_add_f32 v[48:49], v[110:111], v[48:49]
	v_pk_fma_f32 v[110:111], v[108:109], s[24:25], v[216:217] neg_lo:[0,0,1] neg_hi:[0,0,1]
	v_pk_fma_f32 v[222:223], v[108:109], s[24:25], v[216:217]
	v_pk_mul_f32 v[210:211], v[56:57], s[42:43]
	v_mov_b32_e32 v111, v223
	v_pk_fma_f32 v[56:57], v[198:199], s[10:11], v[210:211] neg_lo:[0,0,1] neg_hi:[0,0,1]
	v_pk_fma_f32 v[208:209], v[198:199], s[10:11], v[210:211]
	v_pk_mul_f32 v[214:215], v[132:133], s[38:39]
	v_pk_add_f32 v[48:49], v[110:111], v[48:49]
	v_mov_b32_e32 v57, v209
	v_pk_fma_f32 v[110:111], v[96:97], s[16:17], v[214:215] neg_lo:[0,0,1] neg_hi:[0,0,1]
	v_pk_fma_f32 v[212:213], v[96:97], s[16:17], v[214:215]
	v_pk_add_f32 v[56:57], v[52:53], v[56:57]
	v_mov_b32_e32 v111, v213
	v_pk_mul_f32 v[220:221], v[134:135], s[60:61]
	v_pk_add_f32 v[56:57], v[110:111], v[56:57]
	v_pk_fma_f32 v[110:111], v[98:99], s[26:27], v[220:221] neg_lo:[0,0,1] neg_hi:[0,0,1]
	v_pk_fma_f32 v[218:219], v[98:99], s[26:27], v[220:221]
	v_pk_mul_f32 v[226:227], v[136:137], s[46:47]
	v_mov_b32_e32 v111, v219
	v_pk_add_f32 v[56:57], v[110:111], v[56:57]
	v_pk_fma_f32 v[110:111], v[100:101], s[40:41], v[226:227] neg_lo:[0,0,1] neg_hi:[0,0,1]
	v_pk_fma_f32 v[224:225], v[100:101], s[40:41], v[226:227]
	v_pk_mul_f32 v[230:231], v[138:139], s[66:67]
	v_mov_b32_e32 v111, v225
	;; [unrolled: 5-line block ×3, first 2 shown]
	v_pk_add_f32 v[56:57], v[110:111], v[56:57]
	v_pk_fma_f32 v[110:111], v[104:105], s[24:25], v[234:235] neg_lo:[0,0,1] neg_hi:[0,0,1]
	v_pk_fma_f32 v[232:233], v[104:105], s[24:25], v[234:235]
	s_mov_b32 s64, 0x3f4c4adb
	s_mov_b32 s65, s37
	v_mov_b32_e32 v111, v233
	s_mov_b32 s54, s37
	s_mov_b32 s55, s64
	v_pk_mul_f32 v[238:239], v[142:143], s[64:65]
	v_pk_add_f32 v[56:57], v[110:111], v[56:57]
	v_pk_fma_f32 v[110:111], v[106:107], s[54:55], v[238:239] neg_lo:[0,0,1] neg_hi:[0,0,1]
	v_pk_fma_f32 v[236:237], v[106:107], s[54:55], v[238:239]
	v_pk_mul_f32 v[242:243], v[144:145], s[56:57]
	v_mov_b32_e32 v111, v237
	v_pk_fma_f32 v[246:247], v[108:109], s[30:31], v[242:243] neg_lo:[0,0,1] neg_hi:[0,0,1]
	v_pk_fma_f32 v[240:241], v[108:109], s[30:31], v[242:243]
	v_pk_add_f32 v[56:57], v[110:111], v[56:57]
	v_mov_b32_e32 v247, v241
	v_mov_b32_e32 v126, v18
	v_mov_b32_e32 v127, v18
	v_mov_b32_e32 v18, v19
	v_mov_b32_e32 v124, v12
	v_mov_b32_e32 v125, v12
	v_mov_b32_e32 v12, v13
	v_mov_b32_e32 v122, v14
	v_mov_b32_e32 v123, v14
	v_mov_b32_e32 v14, v15
	v_mov_b32_e32 v120, v8
	v_mov_b32_e32 v121, v8
	v_mov_b32_e32 v8, v9
	v_mov_b32_e32 v118, v10
	v_mov_b32_e32 v119, v10
	v_mov_b32_e32 v10, v11
	v_mov_b32_e32 v116, v4
	v_mov_b32_e32 v117, v4
	v_mov_b32_e32 v4, v5
	v_mov_b32_e32 v114, v6
	v_mov_b32_e32 v115, v6
	v_mov_b32_e32 v6, v7
	v_mov_b32_e32 v112, v0
	v_mov_b32_e32 v113, v0
	v_mov_b32_e32 v0, v1
	v_mov_b32_e32 v110, v2
	v_mov_b32_e32 v111, v2
	v_mov_b32_e32 v2, v3
	v_pk_add_f32 v[56:57], v[246:247], v[56:57]
	s_barrier
	s_and_saveexec_b64 s[34:35], vcc
	s_cbranch_execz .LBB0_19
; %bb.18:
	v_pk_mul_f32 v[92:93], v[198:199], s[18:19]
	v_pk_add_f32 v[54:55], v[54:55], v[52:53]
	v_accvgpr_write_b32 a38, v92
	v_accvgpr_write_b32 a39, v93
	v_pk_mul_f32 v[92:93], v[96:97], s[14:15]
	v_pk_add_f32 v[54:55], v[66:67], v[54:55]
	v_accvgpr_write_b32 a36, v92
	v_accvgpr_write_b32 a37, v93
	;; [unrolled: 4-line block ×14, first 2 shown]
	v_pk_mul_f32 v[92:93], v[108:109], s[30:31]
	v_mov_b64_e32 v[28:29], v[250:251]
	v_accvgpr_write_b32 a10, v92
	v_accvgpr_write_b32 a11, v93
	s_mov_b32 s52, s47
	v_pk_mul_f32 v[92:93], v[130:131], s[62:63] op_sel_hi:[1,0]
	v_pk_add_f32 v[54:55], v[80:81], v[54:55]
	v_pk_fma_f32 v[58:59], v[128:129], s[52:53], v[92:93] op_sel:[0,0,1] op_sel_hi:[1,0,0] neg_lo:[0,0,1] neg_hi:[0,0,1]
	v_pk_add_f32 v[60:61], v[28:29], v[54:55]
	v_pk_fma_f32 v[54:55], v[128:129], s[52:53], v[92:93] op_sel:[0,0,1] op_sel_hi:[1,0,0]
	v_pk_mul_f32 v[62:63], v[132:133], s[48:49]
	v_accvgpr_write_b32 a3, v55
	v_mov_b32_e32 v55, v59
	v_pk_fma_f32 v[28:29], v[96:97], s[2:3], v[62:63]
	v_pk_fma_f32 v[64:65], v[96:97], s[2:3], v[62:63] neg_lo:[1,0,0] neg_hi:[1,0,0]
	v_pk_mul_f32 v[66:67], v[134:135], s[66:67]
	v_pk_add_f32 v[54:55], v[52:53], v[54:55]
	v_mov_b32_e32 v64, v28
	v_pk_fma_f32 v[92:93], v[98:99], s[18:19], v[66:67]
	v_pk_fma_f32 v[68:69], v[98:99], s[18:19], v[66:67] neg_lo:[1,0,0] neg_hi:[1,0,0]
	v_pk_add_f32 v[54:55], v[64:65], v[54:55]
	v_mov_b32_e32 v68, v92
	v_pk_mul_f32 v[70:71], v[136:137], s[42:43]
	s_mov_b32 s53, 0xbf763a35
	v_pk_add_f32 v[54:55], v[68:69], v[54:55]
	v_pk_fma_f32 v[68:69], v[100:101], s[10:11], v[70:71]
	v_pk_fma_f32 v[72:73], v[100:101], s[10:11], v[70:71] neg_lo:[1,0,0] neg_hi:[1,0,0]
	s_mov_b32 s68, s53
	s_mov_b32 s69, s61
	v_mov_b32_e32 v72, v68
	s_mov_b32 s52, s61
	v_pk_mul_f32 v[74:75], v[138:139], s[68:69]
	v_pk_add_f32 v[54:55], v[72:73], v[54:55]
	v_pk_fma_f32 v[72:73], v[102:103], s[52:53], v[74:75]
	v_pk_fma_f32 v[76:77], v[102:103], s[52:53], v[74:75] neg_lo:[1,0,0] neg_hi:[1,0,0]
	v_pk_mul_f32 v[78:79], v[140:141], s[36:37]
	v_mov_b32_e32 v76, v72
	v_pk_add_f32 v[54:55], v[76:77], v[54:55]
	v_pk_fma_f32 v[76:77], v[104:105], s[14:15], v[78:79]
	v_pk_fma_f32 v[80:81], v[104:105], s[14:15], v[78:79] neg_lo:[1,0,0] neg_hi:[1,0,0]
	v_pk_mul_f32 v[82:83], v[142:143], s[58:59]
	v_mov_b32_e32 v80, v76
	v_pk_add_f32 v[54:55], v[80:81], v[54:55]
	v_pk_fma_f32 v[80:81], v[106:107], s[24:25], v[82:83]
	v_pk_fma_f32 v[84:85], v[106:107], s[24:25], v[82:83] neg_lo:[1,0,0] neg_hi:[1,0,0]
	v_accvgpr_write_b32 a9, v29
	v_mov_b32_e32 v84, v80
	v_pk_add_f32 v[28:29], v[84:85], v[54:55]
	v_pk_mul_f32 v[54:55], v[144:145], s[38:39]
	v_mov_b32_e32 v87, v249
	v_pk_fma_f32 v[64:65], v[108:109], s[16:17], v[54:55]
	v_pk_fma_f32 v[84:85], v[108:109], s[16:17], v[54:55] neg_lo:[1,0,0] neg_hi:[1,0,0]
	v_accvgpr_write_b32 a2, v248
	v_mov_b32_e32 v84, v64
	v_pk_mul_f32 v[248:249], v[96:97], s[10:11]
	v_lshlrev_b32_e32 v87, 3, v87
	v_pk_add_f32 v[28:29], v[84:85], v[28:29]
	v_pk_mul_f32 v[250:251], v[98:99], s[14:15]
	v_accvgpr_write_b32 a4, v252
	ds_write2_b64 v87, v[60:61], v[28:29] offset1:1
	v_pk_add_f32 v[60:61], v[150:151], v[248:249] neg_lo:[0,1] neg_hi:[0,1]
	v_accvgpr_write_b32 a5, v253
	v_pk_mul_f32 v[252:253], v[100:101], s[16:17]
	v_accvgpr_write_b32 a6, v254
	v_mov_b32_e32 v153, v61
	v_pk_add_f32 v[60:61], v[154:155], v[250:251] neg_lo:[0,1] neg_hi:[0,1]
	v_accvgpr_write_b32 a7, v255
	v_pk_mul_f32 v[254:255], v[102:103], s[20:21]
	v_mov_b32_e32 v157, v61
	v_pk_add_f32 v[60:61], v[158:159], v[252:253] neg_lo:[0,1] neg_hi:[0,1]
	v_pk_mul_f32 v[30:31], v[104:105], s[26:27]
	v_mov_b32_e32 v161, v61
	v_pk_add_f32 v[60:61], v[162:163], v[254:255] neg_lo:[0,1] neg_hi:[0,1]
	v_pk_mul_f32 v[94:95], v[106:107], s[22:23]
	v_mov_b32_e32 v165, v61
	v_accvgpr_read_b32 v61, a37
	v_accvgpr_read_b32 v60, a36
	v_pk_add_f32 v[60:61], v[184:185], v[60:61] neg_lo:[0,1] neg_hi:[0,1]
	v_pk_add_f32 v[30:31], v[166:167], v[30:31] neg_lo:[0,1] neg_hi:[0,1]
	v_mov_b32_e32 v183, v61
	v_accvgpr_read_b32 v61, a35
	v_accvgpr_read_b32 v60, a34
	v_pk_add_f32 v[60:61], v[186:187], v[60:61] neg_lo:[0,1] neg_hi:[0,1]
	v_accvgpr_write_b32 a0, v244
	v_mov_b32_e32 v189, v61
	v_accvgpr_read_b32 v61, a33
	v_accvgpr_read_b32 v60, a32
	v_pk_add_f32 v[60:61], v[192:193], v[60:61] neg_lo:[0,1] neg_hi:[0,1]
	v_accvgpr_write_b32 a1, v245
	v_pk_mul_f32 v[244:245], v[108:109], s[40:41]
	v_mov_b32_e32 v169, v31
	v_pk_add_f32 v[30:31], v[170:171], v[94:95] neg_lo:[0,1] neg_hi:[0,1]
	v_mov_b32_e32 v191, v61
	v_accvgpr_read_b32 v61, a31
	v_mov_b32_e32 v173, v31
	v_pk_add_f32 v[30:31], v[174:175], v[244:245] neg_lo:[0,1] neg_hi:[0,1]
	v_accvgpr_read_b32 v60, a30
	v_mov_b32_e32 v177, v31
	v_accvgpr_read_b32 v30, a38
	v_pk_add_f32 v[60:61], v[194:195], v[60:61] neg_lo:[0,1] neg_hi:[0,1]
	v_pk_mul_f32 v[246:247], v[198:199], s[2:3]
	v_accvgpr_read_b32 v31, a39
	v_mov_b32_e32 v197, v61
	v_accvgpr_read_b32 v61, a29
	v_pk_add_f32 v[28:29], v[146:147], v[246:247] neg_lo:[0,1] neg_hi:[0,1]
	v_pk_add_f32 v[30:31], v[178:179], v[30:31] neg_lo:[0,1] neg_hi:[0,1]
	v_accvgpr_read_b32 v60, a28
	v_mov_b32_e32 v149, v29
	v_mov_b32_e32 v181, v31
	v_pk_add_f32 v[60:61], v[200:201], v[60:61] neg_lo:[0,1] neg_hi:[0,1]
	v_pk_add_f32 v[28:29], v[52:53], v[148:149]
	v_pk_add_f32 v[30:31], v[52:53], v[180:181]
	v_mov_b32_e32 v203, v61
	v_accvgpr_read_b32 v61, a27
	v_pk_add_f32 v[28:29], v[152:153], v[28:29]
	v_pk_add_f32 v[30:31], v[182:183], v[30:31]
	v_accvgpr_read_b32 v60, a26
	v_pk_add_f32 v[28:29], v[156:157], v[28:29]
	v_pk_add_f32 v[30:31], v[188:189], v[30:31]
	v_pk_add_f32 v[60:61], v[206:207], v[60:61] neg_lo:[0,1] neg_hi:[0,1]
	v_pk_add_f32 v[28:29], v[160:161], v[28:29]
	v_pk_add_f32 v[30:31], v[190:191], v[30:31]
	v_mov_b32_e32 v205, v61
	v_accvgpr_read_b32 v61, a25
	v_pk_add_f32 v[28:29], v[164:165], v[28:29]
	v_pk_add_f32 v[30:31], v[196:197], v[30:31]
	v_accvgpr_read_b32 v60, a24
	v_pk_add_f32 v[28:29], v[168:169], v[28:29]
	v_pk_add_f32 v[30:31], v[202:203], v[30:31]
	v_pk_add_f32 v[60:61], v[216:217], v[60:61] neg_lo:[0,1] neg_hi:[0,1]
	v_pk_add_f32 v[28:29], v[172:173], v[28:29]
	v_pk_add_f32 v[30:31], v[204:205], v[30:31]
	v_mov_b32_e32 v223, v61
	v_pk_add_f32 v[28:29], v[176:177], v[28:29]
	v_pk_add_f32 v[30:31], v[222:223], v[30:31]
	ds_write2_b64 v87, v[28:29], v[30:31] offset0:2 offset1:3
	v_accvgpr_read_b32 v31, a23
	v_accvgpr_read_b32 v30, a22
	v_pk_add_f32 v[30:31], v[214:215], v[30:31] neg_lo:[0,1] neg_hi:[0,1]
	s_mov_b32 s70, s53
	v_mov_b32_e32 v213, v31
	v_accvgpr_read_b32 v31, a21
	v_accvgpr_read_b32 v30, a20
	v_pk_add_f32 v[30:31], v[220:221], v[30:31] neg_lo:[0,1] neg_hi:[0,1]
	s_mov_b32 s72, s61
	v_mov_b32_e32 v219, v31
	v_accvgpr_read_b32 v31, a19
	v_accvgpr_read_b32 v30, a18
	v_pk_add_f32 v[30:31], v[226:227], v[30:31] neg_lo:[0,1] neg_hi:[0,1]
	v_pk_mul_f32 v[158:159], v[132:133], s[50:51]
	v_mov_b32_e32 v225, v31
	v_accvgpr_read_b32 v31, a17
	v_accvgpr_read_b32 v30, a16
	v_pk_add_f32 v[30:31], v[230:231], v[30:31] neg_lo:[0,1] neg_hi:[0,1]
	v_pk_fma_f32 v[164:165], v[96:97], s[20:21], v[158:159]
	v_mov_b32_e32 v229, v31
	v_accvgpr_read_b32 v31, a15
	v_accvgpr_read_b32 v30, a14
	v_pk_add_f32 v[30:31], v[234:235], v[30:31] neg_lo:[0,1] neg_hi:[0,1]
	v_pk_fma_f32 v[60:61], v[96:97], s[20:21], v[158:159] neg_lo:[1,0,0] neg_hi:[1,0,0]
	v_mov_b32_e32 v233, v31
	v_accvgpr_read_b32 v31, a13
	v_accvgpr_read_b32 v30, a12
	v_pk_add_f32 v[30:31], v[238:239], v[30:31] neg_lo:[0,1] neg_hi:[0,1]
	v_pk_mul_f32 v[156:157], v[134:135], s[56:57]
	v_mov_b32_e32 v237, v31
	v_accvgpr_read_b32 v31, a11
	v_accvgpr_read_b32 v30, a10
	v_pk_add_f32 v[30:31], v[242:243], v[30:31] neg_lo:[0,1] neg_hi:[0,1]
	v_mov_b32_e32 v60, v164
	v_mov_b32_e32 v241, v31
	v_pk_mul_f32 v[30:31], v[130:131], s[70:71] op_sel_hi:[1,0]
	v_pk_fma_f32 v[166:167], v[98:99], s[30:31], v[156:157]
	v_pk_fma_f32 v[160:161], v[128:129], s[72:73], v[30:31] op_sel:[0,0,1] op_sel_hi:[1,0,0]
	v_pk_fma_f32 v[162:163], v[128:129], s[72:73], v[30:31] op_sel:[0,0,1] op_sel_hi:[1,0,0] neg_lo:[0,0,1] neg_hi:[0,0,1]
	v_mov_b32_e32 v30, v160
	v_mov_b32_e32 v31, v163
	v_pk_add_f32 v[30:31], v[52:53], v[30:31]
	v_pk_mul_f32 v[154:155], v[136:137], s[66:67]
	v_pk_add_f32 v[30:31], v[60:61], v[30:31]
	v_pk_fma_f32 v[60:61], v[98:99], s[30:31], v[156:157] neg_lo:[1,0,0] neg_hi:[1,0,0]
	v_pk_mul_f32 v[198:199], v[198:199], s[10:11]
	v_mov_b32_e32 v60, v166
	v_pk_add_f32 v[30:31], v[60:61], v[30:31]
	v_pk_fma_f32 v[168:169], v[100:101], s[18:19], v[154:155]
	v_pk_fma_f32 v[60:61], v[100:101], s[18:19], v[154:155] neg_lo:[1,0,0] neg_hi:[1,0,0]
	v_pk_add_f32 v[28:29], v[210:211], v[198:199] neg_lo:[0,1] neg_hi:[0,1]
	v_pk_mul_f32 v[150:151], v[138:139], s[38:39]
	s_mov_b32 s67, 0x3f7ee86f
	v_mov_b32_e32 v60, v168
	v_mov_b32_e32 v209, v29
	s_mov_b32 s70, s67
	s_mov_b32 s71, s43
	v_pk_add_f32 v[30:31], v[60:61], v[30:31]
	v_pk_fma_f32 v[170:171], v[102:103], s[16:17], v[150:151]
	v_pk_fma_f32 v[60:61], v[102:103], s[16:17], v[150:151] neg_lo:[1,0,0] neg_hi:[1,0,0]
	v_pk_add_f32 v[28:29], v[52:53], v[208:209]
	s_mov_b32 s66, s43
	v_pk_mul_f32 v[152:153], v[140:141], s[70:71]
	v_mov_b32_e32 v60, v170
	v_pk_add_f32 v[28:29], v[212:213], v[28:29]
	v_pk_add_f32 v[30:31], v[60:61], v[30:31]
	v_pk_fma_f32 v[172:173], v[104:105], s[66:67], v[152:153]
	v_pk_fma_f32 v[60:61], v[104:105], s[66:67], v[152:153] neg_lo:[1,0,0] neg_hi:[1,0,0]
	v_pk_add_f32 v[28:29], v[218:219], v[28:29]
	v_pk_mul_f32 v[148:149], v[142:143], s[62:63]
	v_mov_b32_e32 v60, v172
	v_pk_add_f32 v[28:29], v[224:225], v[28:29]
	v_pk_add_f32 v[30:31], v[60:61], v[30:31]
	v_pk_fma_f32 v[174:175], v[106:107], s[28:29], v[148:149]
	v_pk_fma_f32 v[60:61], v[106:107], s[28:29], v[148:149] neg_lo:[1,0,0] neg_hi:[1,0,0]
	v_pk_add_f32 v[28:29], v[228:229], v[28:29]
	;; [unrolled: 7-line block ×3, first 2 shown]
	v_mov_b32_e32 v60, v176
	v_pk_add_f32 v[28:29], v[240:241], v[28:29]
	v_pk_add_f32 v[30:31], v[60:61], v[30:31]
	ds_write2_b64 v87, v[28:29], v[30:31] offset0:4 offset1:5
	s_mov_b32 s50, s37
	v_pk_mul_f32 v[28:29], v[130:131], s[36:37] op_sel_hi:[1,0]
	v_pk_mul_f32 v[30:31], v[132:133], s[60:61]
	v_pk_fma_f32 v[184:185], v[128:129], s[50:51], v[28:29] op_sel:[0,0,1] op_sel_hi:[1,0,0]
	v_pk_fma_f32 v[28:29], v[128:129], s[50:51], v[28:29] op_sel:[0,0,1] op_sel_hi:[1,0,0] neg_lo:[0,0,1] neg_hi:[0,0,1]
	v_mov_b32_e32 v186, v184
	v_mov_b32_e32 v187, v29
	v_pk_fma_f32 v[188:189], v[96:97], s[26:27], v[30:31]
	v_pk_fma_f32 v[190:191], v[96:97], s[26:27], v[30:31] neg_lo:[1,0,0] neg_hi:[1,0,0]
	v_pk_mul_f32 v[60:61], v[134:135], s[62:63]
	v_pk_add_f32 v[186:187], v[52:53], v[186:187]
	v_mov_b32_e32 v190, v188
	v_pk_add_f32 v[186:187], v[190:191], v[186:187]
	v_pk_fma_f32 v[190:191], v[98:99], s[28:29], v[60:61]
	v_pk_fma_f32 v[192:193], v[98:99], s[28:29], v[60:61] neg_lo:[1,0,0] neg_hi:[1,0,0]
	v_pk_mul_f32 v[84:85], v[136:137], s[58:59]
	v_mov_b32_e32 v192, v190
	v_pk_add_f32 v[186:187], v[192:193], v[186:187]
	v_pk_fma_f32 v[192:193], v[100:101], s[24:25], v[84:85]
	v_pk_fma_f32 v[194:195], v[100:101], s[24:25], v[84:85] neg_lo:[1,0,0] neg_hi:[1,0,0]
	v_pk_mul_f32 v[94:95], v[138:139], s[70:71]
	;; [unrolled: 5-line block ×5, first 2 shown]
	v_mov_b32_e32 v200, v198
	v_pk_add_f32 v[186:187], v[200:201], v[186:187]
	v_pk_fma_f32 v[200:201], v[108:109], s[22:23], v[182:183]
	v_pk_fma_f32 v[202:203], v[108:109], s[22:23], v[182:183] neg_lo:[1,0,0] neg_hi:[1,0,0]
	s_mov_b32 s48, s51
	v_mov_b32_e32 v202, v200
	v_pk_add_f32 v[186:187], v[202:203], v[186:187]
	v_pk_mul_f32 v[202:203], v[130:131], s[58:59] op_sel_hi:[1,0]
	v_pk_mul_f32 v[204:205], v[132:133], s[44:45]
	v_pk_fma_f32 v[218:219], v[128:129], s[48:49], v[202:203] op_sel:[0,0,1] op_sel_hi:[1,0,0]
	v_pk_fma_f32 v[202:203], v[128:129], s[48:49], v[202:203] op_sel:[0,0,1] op_sel_hi:[1,0,0] neg_lo:[0,0,1] neg_hi:[0,0,1]
	v_mov_b32_e32 v220, v218
	v_mov_b32_e32 v221, v203
	v_pk_fma_f32 v[222:223], v[96:97], s[22:23], v[204:205]
	v_pk_fma_f32 v[224:225], v[96:97], s[22:23], v[204:205] neg_lo:[1,0,0] neg_hi:[1,0,0]
	v_pk_mul_f32 v[206:207], v[134:135], s[42:43]
	v_pk_add_f32 v[220:221], v[52:53], v[220:221]
	v_mov_b32_e32 v224, v222
	v_pk_add_f32 v[220:221], v[224:225], v[220:221]
	v_pk_fma_f32 v[224:225], v[98:99], s[10:11], v[206:207]
	v_pk_fma_f32 v[226:227], v[98:99], s[10:11], v[206:207] neg_lo:[1,0,0] neg_hi:[1,0,0]
	v_pk_mul_f32 v[208:209], v[136:137], s[64:65]
	v_mov_b32_e32 v226, v224
	v_pk_add_f32 v[220:221], v[226:227], v[220:221]
	v_pk_fma_f32 v[226:227], v[100:101], s[54:55], v[208:209]
	v_pk_fma_f32 v[228:229], v[100:101], s[54:55], v[208:209] neg_lo:[1,0,0] neg_hi:[1,0,0]
	v_pk_mul_f32 v[210:211], v[138:139], s[62:63]
	;; [unrolled: 5-line block ×5, first 2 shown]
	v_mov_b32_e32 v234, v232
	v_pk_add_f32 v[220:221], v[234:235], v[220:221]
	v_pk_fma_f32 v[234:235], v[108:109], s[52:53], v[216:217]
	v_pk_fma_f32 v[236:237], v[108:109], s[52:53], v[216:217] neg_lo:[1,0,0] neg_hi:[1,0,0]
	s_mov_b32 s42, s39
	v_mov_b32_e32 v236, v234
	v_pk_add_f32 v[220:221], v[236:237], v[220:221]
	v_pk_mul_f32 v[130:131], v[130:131], s[38:39] op_sel_hi:[1,0]
	ds_write2_b64 v87, v[186:187], v[220:221] offset0:6 offset1:7
	v_pk_mul_f32 v[132:133], v[132:133], s[46:47]
	v_pk_fma_f32 v[186:187], v[128:129], s[42:43], v[130:131] op_sel:[0,0,1] op_sel_hi:[1,0,0]
	v_pk_fma_f32 v[128:129], v[128:129], s[42:43], v[130:131] op_sel:[0,0,1] op_sel_hi:[1,0,0] neg_lo:[0,0,1] neg_hi:[0,0,1]
	v_mov_b32_e32 v130, v186
	v_mov_b32_e32 v131, v129
	v_pk_fma_f32 v[220:221], v[96:97], s[40:41], v[132:133]
	v_pk_fma_f32 v[236:237], v[96:97], s[40:41], v[132:133] neg_lo:[1,0,0] neg_hi:[1,0,0]
	v_mov_b32_e32 v129, v187
	v_pk_fma_f32 v[132:133], v[96:97], s[40:41], v[132:133] neg_lo:[0,0,1] neg_hi:[0,0,1]
	v_pk_mul_f32 v[134:135], v[134:135], s[58:59]
	v_pk_add_f32 v[130:131], v[52:53], v[130:131]
	v_mov_b32_e32 v236, v220
	v_pk_add_f32 v[128:129], v[52:53], v[128:129]
	v_mov_b32_e32 v133, v221
	v_pk_add_f32 v[130:131], v[236:237], v[130:131]
	v_pk_fma_f32 v[236:237], v[98:99], s[24:25], v[134:135]
	v_pk_fma_f32 v[238:239], v[98:99], s[24:25], v[134:135] neg_lo:[1,0,0] neg_hi:[1,0,0]
	v_pk_add_f32 v[128:129], v[132:133], v[128:129]
	v_pk_fma_f32 v[132:133], v[98:99], s[24:25], v[134:135] neg_lo:[0,0,1] neg_hi:[0,0,1]
	v_pk_mul_f32 v[136:137], v[136:137], s[56:57]
	v_mov_b32_e32 v238, v236
	v_mov_b32_e32 v133, v237
	v_pk_add_f32 v[130:131], v[238:239], v[130:131]
	v_pk_fma_f32 v[238:239], v[100:101], s[30:31], v[136:137]
	v_pk_fma_f32 v[240:241], v[100:101], s[30:31], v[136:137] neg_lo:[1,0,0] neg_hi:[1,0,0]
	v_pk_add_f32 v[128:129], v[132:133], v[128:129]
	v_pk_fma_f32 v[132:133], v[100:101], s[30:31], v[136:137] neg_lo:[0,0,1] neg_hi:[0,0,1]
	v_pk_mul_f32 v[138:139], v[138:139], s[36:37]
	v_mov_b32_e32 v240, v238
	;; [unrolled: 8-line block ×5, first 2 shown]
	v_mov_b32_e32 v133, v245
	v_pk_add_f32 v[130:131], v[246:247], v[130:131]
	v_pk_fma_f32 v[246:247], v[108:109], s[66:67], v[144:145]
	v_pk_fma_f32 v[248:249], v[108:109], s[66:67], v[144:145] neg_lo:[1,0,0] neg_hi:[1,0,0]
	v_pk_add_f32 v[128:129], v[132:133], v[128:129]
	v_pk_fma_f32 v[132:133], v[108:109], s[66:67], v[144:145] neg_lo:[0,0,1] neg_hi:[0,0,1]
	v_mov_b32_e32 v248, v246
	v_mov_b32_e32 v133, v247
	v_pk_add_f32 v[130:131], v[248:249], v[130:131]
	v_pk_add_f32 v[128:129], v[132:133], v[128:129]
	ds_write2_b64 v87, v[130:131], v[128:129] offset0:8 offset1:9
	v_mov_b32_e32 v203, v219
	v_pk_fma_f32 v[130:131], v[96:97], s[22:23], v[204:205] neg_lo:[0,0,1] neg_hi:[0,0,1]
	v_mov_b32_e32 v29, v185
	v_pk_fma_f32 v[30:31], v[96:97], s[26:27], v[30:31] neg_lo:[0,0,1] neg_hi:[0,0,1]
	v_pk_add_f32 v[128:129], v[52:53], v[202:203]
	v_mov_b32_e32 v131, v223
	v_pk_add_f32 v[28:29], v[52:53], v[28:29]
	v_mov_b32_e32 v31, v189
	v_pk_add_f32 v[128:129], v[130:131], v[128:129]
	v_pk_fma_f32 v[130:131], v[98:99], s[10:11], v[206:207] neg_lo:[0,0,1] neg_hi:[0,0,1]
	v_pk_add_f32 v[28:29], v[30:31], v[28:29]
	v_pk_fma_f32 v[30:31], v[98:99], s[28:29], v[60:61] neg_lo:[0,0,1] neg_hi:[0,0,1]
	v_mov_b32_e32 v131, v225
	v_mov_b32_e32 v31, v191
	v_pk_add_f32 v[128:129], v[130:131], v[128:129]
	v_pk_fma_f32 v[130:131], v[100:101], s[54:55], v[208:209] neg_lo:[0,0,1] neg_hi:[0,0,1]
	v_pk_add_f32 v[28:29], v[30:31], v[28:29]
	v_pk_fma_f32 v[30:31], v[100:101], s[24:25], v[84:85] neg_lo:[0,0,1] neg_hi:[0,0,1]
	v_mov_b32_e32 v131, v227
	;; [unrolled: 6-line block ×6, first 2 shown]
	v_mov_b32_e32 v31, v201
	v_pk_add_f32 v[128:129], v[130:131], v[128:129]
	v_pk_add_f32 v[28:29], v[30:31], v[28:29]
	v_mov_b32_e32 v163, v161
	v_pk_fma_f32 v[30:31], v[96:97], s[20:21], v[158:159] neg_lo:[0,0,1] neg_hi:[0,0,1]
	ds_write2_b64 v87, v[128:129], v[28:29] offset0:10 offset1:11
	v_pk_add_f32 v[28:29], v[52:53], v[162:163]
	v_mov_b32_e32 v31, v165
	v_pk_add_f32 v[28:29], v[30:31], v[28:29]
	v_pk_fma_f32 v[30:31], v[98:99], s[30:31], v[156:157] neg_lo:[0,0,1] neg_hi:[0,0,1]
	v_accvgpr_read_b32 v59, a3
	v_mov_b32_e32 v31, v167
	v_pk_add_f32 v[28:29], v[30:31], v[28:29]
	v_pk_fma_f32 v[30:31], v[100:101], s[18:19], v[154:155] neg_lo:[0,0,1] neg_hi:[0,0,1]
	v_accvgpr_read_b32 v253, a5
	;; [unrolled: 4-line block ×6, first 2 shown]
	v_mov_b32_e32 v31, v177
	v_pk_add_f32 v[28:29], v[30:31], v[28:29]
	v_pk_fma_f32 v[30:31], v[96:97], s[2:3], v[62:63] neg_lo:[0,0,1] neg_hi:[0,0,1]
	ds_write2_b64 v87, v[28:29], v[56:57] offset0:12 offset1:13
	ds_write2_b64 v87, v[48:49], v[50:51] offset0:14 offset1:15
	v_pk_add_f32 v[28:29], v[52:53], v[58:59]
	v_accvgpr_read_b32 v31, a9
	v_pk_add_f32 v[28:29], v[30:31], v[28:29]
	v_pk_fma_f32 v[30:31], v[98:99], s[18:19], v[66:67] neg_lo:[0,0,1] neg_hi:[0,0,1]
	v_accvgpr_read_b32 v248, a2
	v_mov_b32_e32 v31, v93
	v_pk_add_f32 v[28:29], v[30:31], v[28:29]
	v_pk_fma_f32 v[30:31], v[100:101], s[10:11], v[70:71] neg_lo:[0,0,1] neg_hi:[0,0,1]
	v_accvgpr_read_b32 v245, a1
	v_mov_b32_e32 v31, v69
	v_pk_add_f32 v[28:29], v[30:31], v[28:29]
	v_pk_fma_f32 v[30:31], v[102:103], s[52:53], v[74:75] neg_lo:[0,0,1] neg_hi:[0,0,1]
	s_nop 0
	v_mov_b32_e32 v31, v73
	v_pk_add_f32 v[28:29], v[30:31], v[28:29]
	v_pk_fma_f32 v[30:31], v[104:105], s[14:15], v[78:79] neg_lo:[0,0,1] neg_hi:[0,0,1]
	s_nop 0
	;; [unrolled: 4-line block ×4, first 2 shown]
	v_mov_b32_e32 v31, v65
	v_pk_add_f32 v[28:29], v[30:31], v[28:29]
	ds_write_b64 v87, v[28:29] offset:128
.LBB0_19:
	s_or_b64 exec, exec, s[34:35]
	s_waitcnt lgkmcnt(0)
	s_barrier
	ds_read2_b64 v[52:55], v86 offset1:136
	v_add_u32_e32 v30, 0x800, v86
	ds_read2_b64 v[70:73], v30 offset0:16 offset1:152
	v_add_u32_e32 v28, 0x1000, v86
	ds_read2_b64 v[66:69], v28 offset0:32 offset1:168
	v_mov_b32_e32 v28, v21
	s_waitcnt lgkmcnt(2)
	v_pk_mul_f32 v[30:31], v[20:21], v[54:55] op_sel:[0,1] op_sel_hi:[1,0]
	v_pk_mul_f32 v[28:29], v[28:29], v[54:55] op_sel:[0,1] op_sel_hi:[1,0]
	v_mov_b32_e32 v30, v31
	v_pk_fma_f32 v[28:29], v[20:21], v[54:55], v[28:29]
	v_pk_fma_f32 v[30:31], v[20:21], v[54:55], v[30:31] op_sel:[0,1,0] op_sel_hi:[1,0,1] neg_lo:[0,0,1] neg_hi:[0,0,1]
	v_mov_b32_e32 v20, v23
	s_waitcnt lgkmcnt(1)
	v_pk_mul_f32 v[20:21], v[20:21], v[70:71] op_sel:[0,1] op_sel_hi:[1,0]
	v_mov_b32_e32 v58, v32
	v_pk_fma_f32 v[54:55], v[22:23], v[70:71], v[20:21]
	v_pk_mul_f32 v[20:21], v[22:23], v[70:71] op_sel:[0,1] op_sel_hi:[1,0]
	v_mov_b32_e32 v59, v32
	v_mov_b32_e32 v20, v21
	v_pk_fma_f32 v[78:79], v[22:23], v[70:71], v[20:21] op_sel:[0,1,0] op_sel_hi:[1,0,1] neg_lo:[0,0,1] neg_hi:[0,0,1]
	v_mov_b32_e32 v20, v17
	v_pk_mul_f32 v[20:21], v[20:21], v[72:73] op_sel:[0,1] op_sel_hi:[1,0]
	v_add_u32_e32 v32, 0x2000, v86
	v_pk_fma_f32 v[80:81], v[16:17], v[72:73], v[20:21]
	v_pk_mul_f32 v[20:21], v[16:17], v[72:73] op_sel:[0,1] op_sel_hi:[1,0]
	v_pk_add_f32 v[82:83], v[52:53], v[28:29]
	v_mov_b32_e32 v20, v21
	v_pk_fma_f32 v[16:17], v[16:17], v[72:73], v[20:21] op_sel:[0,1,0] op_sel_hi:[1,0,1] neg_lo:[0,0,1] neg_hi:[0,0,1]
	v_mov_b32_e32 v21, v30
	v_pk_add_f32 v[84:85], v[52:53], v[20:21]
	v_add_u32_e32 v20, 0x1800, v86
	ds_read2_b64 v[20:23], v20 offset0:48 offset1:184
	ds_read2_b64 v[70:73], v32 offset0:64 offset1:200
	v_add_u32_e32 v32, 0x2800, v86
	s_waitcnt lgkmcnt(2)
	v_pk_mul_f32 v[18:19], v[18:19], v[66:67]
	v_mov_b32_e32 v83, v85
	v_mov_b32_e32 v84, v54
	;; [unrolled: 1-line block ×3, first 2 shown]
	ds_read2_b64 v[74:77], v32 offset0:80 offset1:216
	ds_read_b64 v[92:93], v86 offset:13056
	v_pk_fma_f32 v[94:95], v[126:127], v[66:67], v[18:19] op_sel:[0,0,1] op_sel_hi:[1,1,0]
	v_pk_fma_f32 v[66:67], v[126:127], v[66:67], v[18:19] op_sel:[0,0,1] op_sel_hi:[1,1,0] neg_lo:[0,0,1] neg_hi:[0,0,1]
	v_pk_mul_f32 v[12:13], v[12:13], v[68:69]
	v_pk_add_f32 v[82:83], v[82:83], v[84:85]
	v_mov_b32_e32 v84, v80
	v_mov_b32_e32 v85, v16
	;; [unrolled: 1-line block ×4, first 2 shown]
	v_pk_fma_f32 v[96:97], v[124:125], v[68:69], v[12:13] op_sel:[0,0,1] op_sel_hi:[1,1,0]
	v_pk_fma_f32 v[98:99], v[124:125], v[68:69], v[12:13] op_sel:[0,0,1] op_sel_hi:[1,1,0] neg_lo:[0,0,1] neg_hi:[0,0,1]
	s_waitcnt lgkmcnt(3)
	v_pk_mul_f32 v[14:15], v[14:15], v[20:21]
	v_pk_add_f32 v[82:83], v[82:83], v[84:85]
	v_mov_b32_e32 v12, v96
	v_mov_b32_e32 v13, v99
	v_pk_fma_f32 v[100:101], v[122:123], v[20:21], v[14:15] op_sel:[0,0,1] op_sel_hi:[1,1,0]
	v_pk_fma_f32 v[102:103], v[122:123], v[20:21], v[14:15] op_sel:[0,0,1] op_sel_hi:[1,1,0] neg_lo:[0,0,1] neg_hi:[0,0,1]
	v_pk_mul_f32 v[8:9], v[8:9], v[22:23]
	v_pk_add_f32 v[18:19], v[82:83], v[18:19]
	v_mov_b32_e32 v14, v100
	v_mov_b32_e32 v15, v103
	v_pk_fma_f32 v[104:105], v[120:121], v[22:23], v[8:9] op_sel:[0,0,1] op_sel_hi:[1,1,0]
	v_pk_fma_f32 v[106:107], v[120:121], v[22:23], v[8:9] op_sel:[0,0,1] op_sel_hi:[1,1,0] neg_lo:[0,0,1] neg_hi:[0,0,1]
	s_waitcnt lgkmcnt(2)
	v_pk_mul_f32 v[10:11], v[10:11], v[70:71]
	v_pk_add_f32 v[12:13], v[18:19], v[12:13]
	v_mov_b32_e32 v8, v104
	v_mov_b32_e32 v9, v107
	v_pk_fma_f32 v[108:109], v[118:119], v[70:71], v[10:11] op_sel:[0,0,1] op_sel_hi:[1,1,0]
	v_pk_fma_f32 v[70:71], v[118:119], v[70:71], v[10:11] op_sel:[0,0,1] op_sel_hi:[1,1,0] neg_lo:[0,0,1] neg_hi:[0,0,1]
	v_pk_mul_f32 v[4:5], v[4:5], v[72:73]
	v_pk_add_f32 v[12:13], v[12:13], v[14:15]
	v_mov_b32_e32 v10, v108
	v_mov_b32_e32 v11, v71
	v_pk_fma_f32 v[20:21], v[116:117], v[72:73], v[4:5] op_sel:[0,0,1] op_sel_hi:[1,1,0]
	v_pk_fma_f32 v[68:69], v[116:117], v[72:73], v[4:5] op_sel:[0,0,1] op_sel_hi:[1,1,0] neg_lo:[0,0,1] neg_hi:[0,0,1]
	s_waitcnt lgkmcnt(1)
	v_pk_mul_f32 v[6:7], v[6:7], v[74:75]
	v_pk_mul_f32 v[0:1], v[0:1], v[76:77]
	s_waitcnt lgkmcnt(0)
	v_pk_mul_f32 v[2:3], v[2:3], v[92:93]
	v_pk_add_f32 v[8:9], v[12:13], v[8:9]
	v_mov_b32_e32 v4, v20
	v_mov_b32_e32 v5, v69
	v_pk_fma_f32 v[22:23], v[114:115], v[74:75], v[6:7] op_sel:[0,0,1] op_sel_hi:[1,1,0]
	v_pk_fma_f32 v[6:7], v[114:115], v[74:75], v[6:7] op_sel:[0,0,1] op_sel_hi:[1,1,0] neg_lo:[0,0,1] neg_hi:[0,0,1]
	v_pk_fma_f32 v[114:115], v[112:113], v[76:77], v[0:1] op_sel:[0,0,1] op_sel_hi:[1,1,0]
	v_pk_fma_f32 v[0:1], v[112:113], v[76:77], v[0:1] op_sel:[0,0,1] op_sel_hi:[1,1,0] neg_lo:[0,0,1] neg_hi:[0,0,1]
	v_pk_fma_f32 v[76:77], v[110:111], v[92:93], v[2:3] op_sel:[0,0,1] op_sel_hi:[1,1,0]
	v_pk_add_f32 v[8:9], v[8:9], v[10:11]
	s_mov_b32 s36, 0xbeedf032
	v_pk_fma_f32 v[2:3], v[110:111], v[92:93], v[2:3] op_sel:[0,0,1] op_sel_hi:[1,1,0] neg_lo:[0,0,1] neg_hi:[0,0,1]
	v_pk_add_f32 v[4:5], v[8:9], v[4:5]
	v_pk_add_f32 v[8:9], v[28:29], v[76:77]
	v_pk_add_f32 v[10:11], v[28:29], v[76:77] neg_lo:[0,1] neg_hi:[0,1]
	s_mov_b32 s37, 0x3f62ad3f
	s_mov_b32 s16, 0xbf52af12
	v_mov_b32_e32 v72, v22
	v_mov_b32_e32 v73, v7
	;; [unrolled: 1-line block ×3, first 2 shown]
	v_pk_add_f32 v[28:29], v[30:31], v[2:3] op_sel:[0,1] neg_lo:[0,1] neg_hi:[0,1]
	v_pk_add_f32 v[14:15], v[30:31], v[2:3] op_sel_hi:[0,1]
	s_mov_b32 s2, s37
	s_mov_b32 s3, s36
	v_pk_add_f32 v[10:11], v[54:55], v[114:115]
	v_pk_add_f32 v[12:13], v[54:55], v[114:115] neg_lo:[0,1] neg_hi:[0,1]
	s_mov_b32 s17, 0x3f116cb1
	v_mov_b32_e32 v74, v114
	v_mov_b32_e32 v75, v1
	;; [unrolled: 1-line block ×3, first 2 shown]
	v_pk_add_f32 v[4:5], v[4:5], v[72:73]
	v_mov_b32_e32 v14, v28
	v_pk_mul_f32 v[76:77], v[8:9], s[2:3]
	v_mov_b32_e32 v11, v12
	v_pk_add_f32 v[30:31], v[78:79], v[0:1] op_sel:[0,1] neg_lo:[0,1] neg_hi:[0,1]
	v_pk_add_f32 v[18:19], v[78:79], v[0:1] op_sel_hi:[0,1]
	s_mov_b32 s18, s17
	s_mov_b32 s19, s16
	v_mov_b32_e32 v93, v3
	v_pk_add_f32 v[4:5], v[4:5], v[74:75]
	v_pk_fma_f32 v[2:3], v[28:29], s[36:37], v[76:77] neg_lo:[1,0,0] neg_hi:[1,0,0]
	v_pk_fma_f32 v[74:75], v[14:15], s[36:37], v[76:77]
	v_mov_b32_e32 v18, v30
	v_pk_mul_f32 v[78:79], v[10:11], s[18:19]
	v_mov_b32_e32 v3, v75
	v_pk_fma_f32 v[0:1], v[30:31], s[16:17], v[78:79] neg_lo:[1,0,0] neg_hi:[1,0,0]
	v_pk_fma_f32 v[82:83], v[18:19], s[16:17], v[78:79]
	v_pk_add_f32 v[2:3], v[52:53], v[2:3]
	v_mov_b32_e32 v1, v83
	s_mov_b32 s26, 0xbf7e222b
	v_pk_add_f32 v[0:1], v[0:1], v[2:3]
	v_pk_add_f32 v[12:13], v[80:81], v[22:23]
	v_pk_add_f32 v[2:3], v[80:81], v[22:23] neg_lo:[0,1] neg_hi:[0,1]
	s_mov_b32 s27, 0x3df6dbef
	v_mov_b32_e32 v13, v2
	v_pk_add_f32 v[80:81], v[16:17], v[6:7] op_sel:[0,1] neg_lo:[0,1] neg_hi:[0,1]
	v_pk_add_f32 v[22:23], v[16:17], v[6:7] op_sel_hi:[0,1]
	s_mov_b32 s40, s27
	s_mov_b32 s41, s26
	v_mov_b32_e32 v22, v80
	v_pk_mul_f32 v[84:85], v[12:13], s[40:41]
	v_pk_add_f32 v[4:5], v[4:5], v[92:93]
	v_pk_fma_f32 v[2:3], v[80:81], s[26:27], v[84:85] neg_lo:[1,0,0] neg_hi:[1,0,0]
	v_pk_fma_f32 v[92:93], v[22:23], s[26:27], v[84:85]
	s_mov_b32 s10, 0xbf6f5d39
	v_mov_b32_e32 v3, v93
	v_pk_add_f32 v[0:1], v[2:3], v[0:1]
	v_pk_add_f32 v[16:17], v[94:95], v[20:21]
	v_pk_add_f32 v[2:3], v[94:95], v[20:21] neg_lo:[0,1] neg_hi:[0,1]
	s_mov_b32 s11, 0xbeb58ec6
	v_mov_b32_e32 v17, v2
	v_pk_add_f32 v[6:7], v[66:67], v[68:69] neg_lo:[0,1] neg_hi:[0,1]
	v_pk_add_f32 v[68:69], v[66:67], v[68:69]
	s_mov_b32 s2, s11
	s_mov_b32 s3, s10
	v_mov_b32_e32 v68, v7
	v_pk_mul_f32 v[94:95], v[16:17], s[2:3]
	s_mov_b32 s20, 0xbf29c268
	v_pk_fma_f32 v[2:3], v[6:7], s[10:11], v[94:95] op_sel:[1,0,0] neg_lo:[1,0,0] neg_hi:[1,0,0]
	v_pk_fma_f32 v[110:111], v[68:69], s[10:11], v[94:95]
	v_pk_add_f32 v[20:21], v[96:97], v[108:109]
	v_mov_b32_e32 v3, v111
	v_pk_add_f32 v[0:1], v[2:3], v[0:1]
	v_pk_add_f32 v[2:3], v[96:97], v[108:109] neg_lo:[0,1] neg_hi:[0,1]
	s_mov_b32 s21, 0xbf3f9e67
	v_mov_b32_e32 v21, v2
	v_pk_add_f32 v[96:97], v[98:99], v[70:71] neg_lo:[0,1] neg_hi:[0,1]
	v_pk_add_f32 v[70:71], v[98:99], v[70:71]
	s_mov_b32 s14, s21
	s_mov_b32 s15, s20
	v_mov_b32_e32 v70, v97
	v_pk_mul_f32 v[98:99], v[20:21], s[14:15]
	s_mov_b32 s28, 0xbe750f2a
	v_pk_fma_f32 v[2:3], v[96:97], s[20:21], v[98:99] op_sel:[1,0,0] neg_lo:[1,0,0] neg_hi:[1,0,0]
	v_pk_fma_f32 v[108:109], v[70:71], s[20:21], v[98:99]
	v_pk_add_f32 v[66:67], v[100:101], v[104:105]
	v_mov_b32_e32 v3, v109
	v_pk_add_f32 v[0:1], v[2:3], v[0:1]
	v_pk_add_f32 v[2:3], v[100:101], v[104:105] neg_lo:[0,1] neg_hi:[0,1]
	s_mov_b32 s29, 0xbf788fa5
	v_mov_b32_e32 v67, v2
	v_pk_add_f32 v[100:101], v[102:103], v[106:107] neg_lo:[0,1] neg_hi:[0,1]
	v_pk_add_f32 v[72:73], v[102:103], v[106:107]
	s_mov_b32 s22, s29
	s_mov_b32 s23, s28
	v_mov_b32_e32 v72, v101
	v_pk_mul_f32 v[102:103], v[66:67], s[22:23]
	v_pk_mul_f32 v[106:107], v[8:9], s[18:19]
	v_pk_fma_f32 v[2:3], v[100:101], s[28:29], v[102:103] op_sel:[1,0,0] neg_lo:[1,0,0] neg_hi:[1,0,0]
	v_pk_fma_f32 v[104:105], v[72:73], s[28:29], v[102:103]
	v_pk_fma_f32 v[112:113], v[14:15], s[16:17], v[106:107]
	v_mov_b32_e32 v3, v105
	v_pk_add_f32 v[54:55], v[2:3], v[0:1]
	v_pk_fma_f32 v[0:1], v[28:29], s[16:17], v[106:107] neg_lo:[1,0,0] neg_hi:[1,0,0]
	v_pk_mul_f32 v[114:115], v[10:11], s[2:3]
	v_mov_b32_e32 v1, v113
	v_pk_fma_f32 v[2:3], v[30:31], s[10:11], v[114:115] neg_lo:[1,0,0] neg_hi:[1,0,0]
	v_pk_fma_f32 v[116:117], v[18:19], s[10:11], v[114:115]
	v_pk_add_f32 v[0:1], v[52:53], v[0:1]
	v_mov_b32_e32 v3, v117
	v_pk_mul_f32 v[118:119], v[12:13], s[22:23]
	s_mov_b32 s42, 0x3f29c268
	v_pk_add_f32 v[0:1], v[2:3], v[0:1]
	v_pk_fma_f32 v[2:3], v[80:81], s[28:29], v[118:119] neg_lo:[1,0,0] neg_hi:[1,0,0]
	v_pk_fma_f32 v[120:121], v[22:23], s[28:29], v[118:119]
	s_mov_b32 s44, s21
	s_mov_b32 s45, s42
	v_mov_b32_e32 v3, v121
	s_mov_b32 s43, s21
	v_pk_mul_f32 v[122:123], v[16:17], s[44:45]
	s_mov_b32 s30, 0x3f7e222b
	v_pk_add_f32 v[0:1], v[2:3], v[0:1]
	v_pk_fma_f32 v[2:3], v[6:7], s[42:43], v[122:123] op_sel:[1,0,0] neg_lo:[1,0,0] neg_hi:[1,0,0]
	v_pk_fma_f32 v[124:125], v[68:69], s[42:43], v[122:123]
	s_mov_b32 s24, s27
	s_mov_b32 s25, s30
	v_mov_b32_e32 v3, v125
	s_mov_b32 s31, s27
	v_pk_mul_f32 v[126:127], v[20:21], s[24:25]
	s_mov_b32 s38, 0x3eedf032
	v_pk_add_f32 v[0:1], v[2:3], v[0:1]
	v_pk_fma_f32 v[2:3], v[96:97], s[30:31], v[126:127] op_sel:[1,0,0] neg_lo:[1,0,0] neg_hi:[1,0,0]
	v_pk_fma_f32 v[128:129], v[70:71], s[30:31], v[126:127]
	s_mov_b32 s34, s37
	s_mov_b32 s35, s38
	v_mov_b32_e32 v3, v129
	s_mov_b32 s39, s37
	v_pk_mul_f32 v[130:131], v[66:67], s[34:35]
	v_pk_add_f32 v[0:1], v[2:3], v[0:1]
	v_pk_fma_f32 v[2:3], v[100:101], s[38:39], v[130:131] op_sel:[1,0,0] neg_lo:[1,0,0] neg_hi:[1,0,0]
	v_pk_fma_f32 v[132:133], v[72:73], s[38:39], v[130:131]
	v_pk_mul_f32 v[134:135], v[8:9], s[40:41]
	v_mov_b32_e32 v3, v133
	v_pk_add_f32 v[2:3], v[2:3], v[0:1]
	v_pk_fma_f32 v[0:1], v[28:29], s[26:27], v[134:135] neg_lo:[1,0,0] neg_hi:[1,0,0]
	v_pk_fma_f32 v[136:137], v[14:15], s[26:27], v[134:135]
	v_pk_mul_f32 v[138:139], v[10:11], s[22:23]
	v_mov_b32_e32 v1, v137
	v_pk_fma_f32 v[140:141], v[30:31], s[28:29], v[138:139] neg_lo:[1,0,0] neg_hi:[1,0,0]
	v_pk_fma_f32 v[142:143], v[18:19], s[28:29], v[138:139]
	s_mov_b32 s50, 0x3f6f5d39
	v_pk_add_f32 v[0:1], v[52:53], v[0:1]
	v_mov_b32_e32 v141, v143
	s_mov_b32 s46, s11
	s_mov_b32 s47, s50
	v_pk_add_f32 v[0:1], v[140:141], v[0:1]
	s_mov_b32 s51, s11
	v_pk_mul_f32 v[140:141], v[12:13], s[46:47]
	v_pk_fma_f32 v[76:77], v[14:15], s[36:37], v[76:77] neg_lo:[0,0,1] neg_hi:[0,0,1]
	v_pk_fma_f32 v[144:145], v[80:81], s[50:51], v[140:141] neg_lo:[1,0,0] neg_hi:[1,0,0]
	v_pk_fma_f32 v[146:147], v[22:23], s[50:51], v[140:141]
	v_mov_b32_e32 v75, v77
	v_pk_fma_f32 v[76:77], v[18:19], s[16:17], v[78:79] neg_lo:[0,0,1] neg_hi:[0,0,1]
	v_mov_b32_e32 v145, v147
	v_pk_add_f32 v[74:75], v[52:53], v[74:75]
	v_mov_b32_e32 v83, v77
	v_pk_fma_f32 v[76:77], v[22:23], s[26:27], v[84:85] neg_lo:[0,0,1] neg_hi:[0,0,1]
	v_pk_add_f32 v[0:1], v[144:145], v[0:1]
	v_pk_mul_f32 v[144:145], v[16:17], s[34:35]
	v_pk_add_f32 v[74:75], v[82:83], v[74:75]
	v_mov_b32_e32 v93, v77
	v_pk_fma_f32 v[76:77], v[68:69], s[10:11], v[94:95] neg_lo:[0,0,1] neg_hi:[0,0,1]
	v_pk_fma_f32 v[148:149], v[6:7], s[38:39], v[144:145] op_sel:[1,0,0] neg_lo:[1,0,0] neg_hi:[1,0,0]
	v_pk_fma_f32 v[150:151], v[68:69], s[38:39], v[144:145]
	v_pk_add_f32 v[74:75], v[92:93], v[74:75]
	v_mov_b32_e32 v111, v77
	v_pk_fma_f32 v[76:77], v[70:71], s[20:21], v[98:99] neg_lo:[0,0,1] neg_hi:[0,0,1]
	v_mov_b32_e32 v149, v151
	v_pk_add_f32 v[74:75], v[110:111], v[74:75]
	v_mov_b32_e32 v109, v77
	v_pk_fma_f32 v[76:77], v[72:73], s[28:29], v[102:103] neg_lo:[0,0,1] neg_hi:[0,0,1]
	v_pk_add_f32 v[0:1], v[148:149], v[0:1]
	v_pk_mul_f32 v[148:149], v[20:21], s[18:19]
	v_pk_add_f32 v[74:75], v[108:109], v[74:75]
	v_mov_b32_e32 v105, v77
	v_pk_fma_f32 v[152:153], v[96:97], s[16:17], v[148:149] op_sel:[1,0,0] neg_lo:[1,0,0] neg_hi:[1,0,0]
	v_pk_fma_f32 v[154:155], v[70:71], s[16:17], v[148:149]
	v_pk_add_f32 v[74:75], v[104:105], v[74:75]
	v_mov_b32_e32 v153, v155
	s_barrier
	ds_write2_b64 v245, v[4:5], v[74:75] offset1:17
	v_pk_fma_f32 v[74:75], v[18:19], s[10:11], v[114:115] neg_lo:[0,0,1] neg_hi:[0,0,1]
	v_pk_add_f32 v[0:1], v[152:153], v[0:1]
	v_pk_mul_f32 v[152:153], v[66:67], s[14:15]
	v_mov_b32_e32 v117, v75
	v_pk_fma_f32 v[74:75], v[22:23], s[28:29], v[118:119] neg_lo:[0,0,1] neg_hi:[0,0,1]
	v_pk_fma_f32 v[156:157], v[100:101], s[20:21], v[152:153] op_sel:[1,0,0] neg_lo:[1,0,0] neg_hi:[1,0,0]
	v_pk_fma_f32 v[158:159], v[72:73], s[20:21], v[152:153]
	v_mov_b32_e32 v121, v75
	v_pk_fma_f32 v[74:75], v[68:69], s[42:43], v[122:123] neg_lo:[0,0,1] neg_hi:[0,0,1]
	v_mov_b32_e32 v157, v159
	v_mov_b32_e32 v125, v75
	v_pk_fma_f32 v[74:75], v[70:71], s[30:31], v[126:127] neg_lo:[0,0,1] neg_hi:[0,0,1]
	v_pk_add_f32 v[0:1], v[156:157], v[0:1]
	v_pk_mul_f32 v[156:157], v[8:9], s[2:3]
	v_mov_b32_e32 v129, v75
	v_pk_fma_f32 v[74:75], v[72:73], s[38:39], v[130:131] neg_lo:[0,0,1] neg_hi:[0,0,1]
	v_pk_fma_f32 v[28:29], v[28:29], s[10:11], v[156:157] neg_lo:[1,0,0] neg_hi:[1,0,0]
	v_pk_fma_f32 v[160:161], v[14:15], s[10:11], v[156:157]
	v_pk_mul_f32 v[162:163], v[10:11], s[44:45]
	v_pk_fma_f32 v[4:5], v[14:15], s[16:17], v[106:107] neg_lo:[0,0,1] neg_hi:[0,0,1]
	v_mov_b32_e32 v133, v75
	v_pk_fma_f32 v[74:75], v[14:15], s[26:27], v[134:135] neg_lo:[0,0,1] neg_hi:[0,0,1]
	v_mov_b32_e32 v29, v161
	v_pk_fma_f32 v[30:31], v[30:31], s[42:43], v[162:163] neg_lo:[1,0,0] neg_hi:[1,0,0]
	v_pk_fma_f32 v[164:165], v[18:19], s[42:43], v[162:163]
	v_mov_b32_e32 v113, v5
	v_mov_b32_e32 v137, v75
	v_pk_fma_f32 v[76:77], v[18:19], s[28:29], v[138:139] neg_lo:[0,0,1] neg_hi:[0,0,1]
	v_pk_add_f32 v[28:29], v[52:53], v[28:29]
	v_mov_b32_e32 v31, v165
	v_pk_add_f32 v[4:5], v[52:53], v[112:113]
	v_pk_add_f32 v[74:75], v[52:53], v[136:137]
	v_mov_b32_e32 v143, v77
	v_pk_fma_f32 v[76:77], v[22:23], s[50:51], v[140:141] neg_lo:[0,0,1] neg_hi:[0,0,1]
	v_pk_add_f32 v[28:29], v[30:31], v[28:29]
	v_pk_mul_f32 v[30:31], v[12:13], s[34:35]
	v_pk_add_f32 v[4:5], v[116:117], v[4:5]
	v_pk_add_f32 v[74:75], v[142:143], v[74:75]
	v_mov_b32_e32 v147, v77
	v_pk_fma_f32 v[76:77], v[68:69], s[38:39], v[144:145] neg_lo:[0,0,1] neg_hi:[0,0,1]
	v_pk_fma_f32 v[80:81], v[80:81], s[38:39], v[30:31] neg_lo:[1,0,0] neg_hi:[1,0,0]
	v_pk_fma_f32 v[166:167], v[22:23], s[38:39], v[30:31]
	v_pk_add_f32 v[4:5], v[120:121], v[4:5]
	v_pk_add_f32 v[74:75], v[146:147], v[74:75]
	v_mov_b32_e32 v151, v77
	v_pk_fma_f32 v[76:77], v[70:71], s[16:17], v[148:149] neg_lo:[0,0,1] neg_hi:[0,0,1]
	v_mov_b32_e32 v81, v167
	v_pk_add_f32 v[4:5], v[124:125], v[4:5]
	v_pk_add_f32 v[74:75], v[150:151], v[74:75]
	v_mov_b32_e32 v155, v77
	v_pk_fma_f32 v[76:77], v[72:73], s[20:21], v[152:153] neg_lo:[0,0,1] neg_hi:[0,0,1]
	v_pk_add_f32 v[28:29], v[80:81], v[28:29]
	v_pk_mul_f32 v[80:81], v[16:17], s[40:41]
	v_pk_add_f32 v[4:5], v[128:129], v[4:5]
	v_pk_add_f32 v[74:75], v[154:155], v[74:75]
	v_mov_b32_e32 v159, v77
	v_pk_fma_f32 v[6:7], v[6:7], s[26:27], v[80:81] op_sel:[1,0,0] neg_lo:[1,0,0] neg_hi:[1,0,0]
	v_pk_fma_f32 v[168:169], v[68:69], s[26:27], v[80:81]
	s_mov_b32 s48, 0x3e750f2a
	v_pk_add_f32 v[4:5], v[132:133], v[4:5]
	v_pk_add_f32 v[74:75], v[158:159], v[74:75]
	v_mov_b32_e32 v7, v169
	s_mov_b32 s46, s29
	s_mov_b32 s47, s48
	ds_write2_b64 v245, v[4:5], v[74:75] offset0:34 offset1:51
	v_pk_fma_f32 v[4:5], v[14:15], s[10:11], v[156:157] neg_lo:[0,0,1] neg_hi:[0,0,1]
	v_pk_add_f32 v[6:7], v[6:7], v[28:29]
	s_mov_b32 s49, s29
	v_pk_mul_f32 v[28:29], v[20:21], s[46:47]
	v_mov_b32_e32 v161, v5
	v_pk_fma_f32 v[74:75], v[18:19], s[42:43], v[162:163] neg_lo:[0,0,1] neg_hi:[0,0,1]
	v_pk_fma_f32 v[170:171], v[96:97], s[48:49], v[28:29] op_sel:[1,0,0] neg_lo:[1,0,0] neg_hi:[1,0,0]
	v_pk_fma_f32 v[172:173], v[70:71], s[48:49], v[28:29]
	s_mov_b32 s44, 0x3f52af12
	v_pk_add_f32 v[4:5], v[52:53], v[160:161]
	v_mov_b32_e32 v165, v75
	v_pk_fma_f32 v[30:31], v[22:23], s[38:39], v[30:31] neg_lo:[0,0,1] neg_hi:[0,0,1]
	v_mov_b32_e32 v171, v173
	s_mov_b32 s40, s17
	s_mov_b32 s41, s44
	v_pk_add_f32 v[4:5], v[164:165], v[4:5]
	v_mov_b32_e32 v167, v31
	v_pk_fma_f32 v[30:31], v[68:69], s[26:27], v[80:81] neg_lo:[0,0,1] neg_hi:[0,0,1]
	v_pk_add_f32 v[6:7], v[170:171], v[6:7]
	s_mov_b32 s45, s17
	v_pk_mul_f32 v[170:171], v[66:67], s[40:41]
	v_pk_add_f32 v[4:5], v[166:167], v[4:5]
	v_mov_b32_e32 v169, v31
	v_pk_fma_f32 v[28:29], v[70:71], s[48:49], v[28:29] neg_lo:[0,0,1] neg_hi:[0,0,1]
	v_pk_fma_f32 v[174:175], v[100:101], s[44:45], v[170:171] op_sel:[1,0,0] neg_lo:[1,0,0] neg_hi:[1,0,0]
	v_pk_fma_f32 v[176:177], v[72:73], s[44:45], v[170:171]
	v_pk_add_f32 v[4:5], v[168:169], v[4:5]
	v_mov_b32_e32 v173, v29
	v_pk_fma_f32 v[28:29], v[72:73], s[44:45], v[170:171] neg_lo:[0,0,1] neg_hi:[0,0,1]
	v_mov_b32_e32 v175, v177
	v_pk_add_f32 v[4:5], v[172:173], v[4:5]
	v_mov_b32_e32 v177, v29
	v_pk_add_f32 v[28:29], v[176:177], v[4:5]
	v_pk_mul_f32 v[4:5], v[14:15], s[20:21]
	v_pk_mul_f32 v[76:77], v[18:19], s[30:31]
	v_pk_fma_f32 v[30:31], v[8:9], s[14:15], v[4:5]
	v_pk_fma_f32 v[74:75], v[8:9], s[14:15], v[4:5] neg_lo:[1,0,0] neg_hi:[1,0,0]
	v_pk_fma_f32 v[4:5], v[8:9], s[14:15], v[4:5] neg_lo:[0,0,1] neg_hi:[0,0,1]
	v_mov_b32_e32 v74, v30
	v_pk_fma_f32 v[78:79], v[10:11], s[24:25], v[76:77]
	v_mov_b32_e32 v5, v31
	v_pk_fma_f32 v[30:31], v[10:11], s[24:25], v[76:77] neg_lo:[0,0,1] neg_hi:[0,0,1]
	v_pk_add_f32 v[4:5], v[52:53], v[4:5]
	v_mov_b32_e32 v31, v79
	v_pk_fma_f32 v[80:81], v[10:11], s[24:25], v[76:77] neg_lo:[1,0,0] neg_hi:[1,0,0]
	v_pk_add_f32 v[4:5], v[30:31], v[4:5]
	v_pk_mul_f32 v[30:31], v[22:23], s[16:17]
	v_pk_add_f32 v[74:75], v[52:53], v[74:75]
	v_mov_b32_e32 v80, v78
	v_pk_fma_f32 v[76:77], v[12:13], s[18:19], v[30:31]
	v_pk_fma_f32 v[78:79], v[12:13], s[18:19], v[30:31] neg_lo:[1,0,0] neg_hi:[1,0,0]
	v_pk_add_f32 v[74:75], v[80:81], v[74:75]
	v_mov_b32_e32 v78, v76
	v_pk_add_f32 v[74:75], v[78:79], v[74:75]
	v_pk_fma_f32 v[30:31], v[12:13], s[18:19], v[30:31] neg_lo:[0,0,1] neg_hi:[0,0,1]
	v_pk_mul_f32 v[78:79], v[68:69], s[48:49]
	v_pk_add_f32 v[6:7], v[174:175], v[6:7]
	v_pk_mul_f32 v[174:175], v[20:21], s[34:35]
	v_pk_fma_f32 v[80:81], v[16:17], s[46:47], v[78:79]
	v_pk_fma_f32 v[82:83], v[16:17], s[46:47], v[78:79] neg_lo:[1,0,0] neg_hi:[1,0,0]
	v_mov_b32_e32 v31, v77
	v_pk_fma_f32 v[96:97], v[96:97], s[38:39], v[174:175] op_sel:[1,0,0] neg_lo:[1,0,0] neg_hi:[1,0,0]
	v_pk_fma_f32 v[178:179], v[70:71], s[38:39], v[174:175]
	v_mov_b32_e32 v82, v80
	v_pk_add_f32 v[4:5], v[30:31], v[4:5]
	v_pk_fma_f32 v[30:31], v[70:71], s[38:39], v[174:175] neg_lo:[0,0,1] neg_hi:[0,0,1]
	v_mov_b32_e32 v97, v179
	v_pk_mul_f32 v[180:181], v[66:67], s[2:3]
	v_pk_add_f32 v[74:75], v[82:83], v[74:75]
	v_mov_b32_e32 v179, v31
	v_pk_fma_f32 v[100:101], v[100:101], s[10:11], v[180:181] op_sel:[1,0,0] neg_lo:[1,0,0] neg_hi:[1,0,0]
	v_pk_fma_f32 v[182:183], v[72:73], s[10:11], v[180:181]
	v_pk_add_f32 v[30:31], v[178:179], v[74:75]
	v_pk_fma_f32 v[74:75], v[72:73], s[10:11], v[180:181] neg_lo:[0,0,1] neg_hi:[0,0,1]
	v_mov_b32_e32 v101, v183
	v_mov_b32_e32 v183, v75
	v_pk_add_f32 v[30:31], v[182:183], v[30:31]
	v_pk_mul_f32 v[14:15], v[14:15], s[28:29]
	ds_write2_b64 v245, v[28:29], v[30:31] offset0:68 offset1:85
	v_pk_fma_f32 v[28:29], v[8:9], s[22:23], v[14:15]
	v_pk_fma_f32 v[30:31], v[8:9], s[22:23], v[14:15] neg_lo:[1,0,0] neg_hi:[1,0,0]
	v_pk_mul_f32 v[18:19], v[18:19], s[38:39]
	v_pk_fma_f32 v[8:9], v[8:9], s[22:23], v[14:15] neg_lo:[0,0,1] neg_hi:[0,0,1]
	v_pk_fma_f32 v[78:79], v[16:17], s[46:47], v[78:79] neg_lo:[0,0,1] neg_hi:[0,0,1]
	v_mov_b32_e32 v30, v28
	v_pk_fma_f32 v[74:75], v[10:11], s[34:35], v[18:19]
	v_pk_fma_f32 v[76:77], v[10:11], s[34:35], v[18:19] neg_lo:[1,0,0] neg_hi:[1,0,0]
	v_mov_b32_e32 v9, v29
	v_pk_fma_f32 v[10:11], v[10:11], s[34:35], v[18:19] neg_lo:[0,0,1] neg_hi:[0,0,1]
	v_mov_b32_e32 v79, v81
	v_pk_add_f32 v[30:31], v[52:53], v[30:31]
	v_mov_b32_e32 v76, v74
	v_pk_mul_f32 v[22:23], v[22:23], s[20:21]
	v_pk_add_f32 v[8:9], v[52:53], v[8:9]
	v_mov_b32_e32 v11, v75
	v_pk_add_f32 v[4:5], v[78:79], v[4:5]
	v_pk_add_f32 v[30:31], v[76:77], v[30:31]
	v_pk_fma_f32 v[76:77], v[12:13], s[14:15], v[22:23]
	v_pk_fma_f32 v[78:79], v[12:13], s[14:15], v[22:23] neg_lo:[1,0,0] neg_hi:[1,0,0]
	v_pk_add_f32 v[8:9], v[10:11], v[8:9]
	v_pk_fma_f32 v[10:11], v[12:13], s[14:15], v[22:23] neg_lo:[0,0,1] neg_hi:[0,0,1]
	v_mov_b32_e32 v78, v76
	v_pk_mul_f32 v[68:69], v[68:69], s[44:45]
	v_mov_b32_e32 v11, v77
	v_pk_add_f32 v[30:31], v[78:79], v[30:31]
	v_pk_fma_f32 v[78:79], v[16:17], s[40:41], v[68:69]
	v_pk_fma_f32 v[80:81], v[16:17], s[40:41], v[68:69] neg_lo:[1,0,0] neg_hi:[1,0,0]
	v_pk_add_f32 v[8:9], v[10:11], v[8:9]
	v_pk_fma_f32 v[10:11], v[16:17], s[40:41], v[68:69] neg_lo:[0,0,1] neg_hi:[0,0,1]
	v_mov_b32_e32 v80, v78
	v_pk_mul_f32 v[70:71], v[70:71], s[10:11]
	v_mov_b32_e32 v11, v79
	;; [unrolled: 8-line block ×3, first 2 shown]
	v_pk_add_f32 v[30:31], v[82:83], v[30:31]
	v_pk_fma_f32 v[82:83], v[66:67], s[24:25], v[72:73]
	v_pk_fma_f32 v[84:85], v[66:67], s[24:25], v[72:73] neg_lo:[1,0,0] neg_hi:[1,0,0]
	v_pk_add_f32 v[8:9], v[10:11], v[8:9]
	v_pk_fma_f32 v[10:11], v[66:67], s[24:25], v[72:73] neg_lo:[0,0,1] neg_hi:[0,0,1]
	v_mov_b32_e32 v84, v82
	v_mov_b32_e32 v11, v83
	v_pk_add_f32 v[4:5], v[96:97], v[4:5]
	v_pk_add_f32 v[30:31], v[84:85], v[30:31]
	;; [unrolled: 1-line block ×3, first 2 shown]
	v_add_u32_e32 v66, 0xd00, v86
	v_add_u32_e32 v67, 0x1b00, v86
	;; [unrolled: 1-line block ×3, first 2 shown]
	v_pk_add_f32 v[4:5], v[100:101], v[4:5]
	ds_write2_b64 v245, v[30:31], v[8:9] offset0:102 offset1:119
	ds_write2_b64 v245, v[4:5], v[6:7] offset0:136 offset1:153
	;; [unrolled: 1-line block ×3, first 2 shown]
	ds_write_b64 v245, v[54:55] offset:1632
	s_waitcnt lgkmcnt(0)
	s_barrier
	ds_read2_b64 v[8:11], v86 offset1:221
	ds_read2_b64 v[20:23], v66 offset0:26 offset1:247
	ds_read2_b64 v[16:19], v67 offset0:20 offset1:241
	;; [unrolled: 1-line block ×3, first 2 shown]
	v_mov_b32_e32 v64, v40
	v_mov_b32_e32 v65, v40
	;; [unrolled: 1-line block ×13, first 2 shown]
	s_and_saveexec_b64 s[2:3], s[0:1]
	s_cbranch_execz .LBB0_21
; %bb.20:
	v_add_u32_e32 v0, 0x400, v86
	v_add_u32_e32 v28, 0x1f00, v86
	ds_read2_b64 v[4:7], v0 offset0:8 offset1:229
	v_add_u32_e32 v0, 0x1200, v86
	ds_read2_b64 v[54:57], v28 offset0:28 offset1:249
	;; [unrolled: 2-line block ×3, first 2 shown]
	ds_read2_b64 v[48:51], v28 offset0:22 offset1:243
.LBB0_21:
	s_or_b64 exec, exec, s[2:3]
	s_waitcnt lgkmcnt(3)
	v_pk_mul_f32 v[28:29], v[40:41], v[10:11]
	s_waitcnt lgkmcnt(2)
	v_pk_mul_f32 v[30:31], v[42:43], v[20:21]
	v_pk_fma_f32 v[70:71], v[64:65], v[10:11], v[28:29] op_sel:[0,0,1] op_sel_hi:[1,1,0]
	v_pk_fma_f32 v[10:11], v[64:65], v[10:11], v[28:29] op_sel:[0,0,1] op_sel_hi:[1,1,0] neg_lo:[0,0,1] neg_hi:[0,0,1]
	v_pk_mul_f32 v[40:41], v[24:25], v[22:23] op_sel:[1,0]
	v_mov_b32_e32 v71, v11
	v_pk_fma_f32 v[10:11], v[62:63], v[20:21], v[30:31] op_sel:[0,0,1] op_sel_hi:[1,1,0]
	v_pk_fma_f32 v[20:21], v[62:63], v[20:21], v[30:31] op_sel:[0,0,1] op_sel_hi:[1,1,0] neg_lo:[0,0,1] neg_hi:[0,0,1]
	s_waitcnt lgkmcnt(1)
	v_pk_mul_f32 v[26:27], v[26:27], v[16:17]
	v_mov_b32_e32 v11, v21
	v_pk_fma_f32 v[20:21], v[24:25], v[22:23], v[40:41] op_sel:[0,0,1] op_sel_hi:[1,1,0]
	v_pk_fma_f32 v[22:23], v[24:25], v[22:23], v[40:41] op_sel:[0,0,1] op_sel_hi:[0,1,0] neg_lo:[0,0,1] neg_hi:[0,0,1]
	v_pk_mul_f32 v[32:33], v[32:33], v[18:19]
	v_mov_b32_e32 v21, v23
	v_pk_fma_f32 v[22:23], v[60:61], v[16:17], v[26:27] op_sel:[0,0,1] op_sel_hi:[1,1,0]
	v_pk_fma_f32 v[16:17], v[60:61], v[16:17], v[26:27] op_sel:[0,0,1] op_sel_hi:[1,1,0] neg_lo:[0,0,1] neg_hi:[0,0,1]
	s_waitcnt lgkmcnt(0)
	v_pk_mul_f32 v[34:35], v[34:35], v[12:13]
	v_mov_b32_e32 v23, v17
	v_pk_fma_f32 v[16:17], v[58:59], v[18:19], v[32:33] op_sel:[0,0,1] op_sel_hi:[1,1,0]
	v_pk_fma_f32 v[18:19], v[58:59], v[18:19], v[32:33] op_sel:[0,0,1] op_sel_hi:[1,1,0] neg_lo:[0,0,1] neg_hi:[0,0,1]
	v_pk_mul_f32 v[42:43], v[252:253], v[14:15] op_sel:[1,0]
	v_mov_b32_e32 v17, v19
	v_pk_fma_f32 v[18:19], v[52:53], v[12:13], v[34:35] op_sel:[0,0,1] op_sel_hi:[1,1,0]
	v_pk_fma_f32 v[12:13], v[52:53], v[12:13], v[34:35] op_sel:[0,0,1] op_sel_hi:[1,1,0] neg_lo:[0,0,1] neg_hi:[0,0,1]
	v_pk_add_f32 v[16:17], v[70:71], v[16:17] neg_lo:[0,1] neg_hi:[0,1]
	v_mov_b32_e32 v19, v13
	v_pk_fma_f32 v[12:13], v[252:253], v[14:15], v[42:43] op_sel:[0,0,1] op_sel_hi:[1,1,0]
	v_pk_fma_f32 v[14:15], v[252:253], v[14:15], v[42:43] op_sel:[0,0,1] op_sel_hi:[0,1,0] neg_lo:[0,0,1] neg_hi:[0,0,1]
	v_mov_b32_e32 v13, v15
	v_pk_add_f32 v[14:15], v[8:9], v[22:23] neg_lo:[0,1] neg_hi:[0,1]
	v_pk_add_f32 v[18:19], v[10:11], v[18:19] neg_lo:[0,1] neg_hi:[0,1]
	;; [unrolled: 1-line block ×3, first 2 shown]
	v_pk_fma_f32 v[10:11], v[10:11], 2.0, v[18:19] op_sel_hi:[1,0,1] neg_lo:[0,0,1] neg_hi:[0,0,1]
	v_pk_add_f32 v[24:25], v[14:15], v[18:19] op_sel:[0,1] op_sel_hi:[1,0]
	v_pk_add_f32 v[18:19], v[14:15], v[18:19] op_sel:[0,1] op_sel_hi:[1,0] neg_lo:[0,1] neg_hi:[0,1]
	v_pk_fma_f32 v[20:21], v[20:21], 2.0, v[12:13] op_sel_hi:[1,0,1] neg_lo:[0,0,1] neg_hi:[0,0,1]
	v_mov_b32_e32 v25, v19
	v_pk_add_f32 v[18:19], v[16:17], v[12:13] op_sel:[0,1] op_sel_hi:[1,0]
	v_pk_add_f32 v[12:13], v[16:17], v[12:13] op_sel:[0,1] op_sel_hi:[1,0] neg_lo:[0,1] neg_hi:[0,1]
	v_pk_fma_f32 v[8:9], v[8:9], 2.0, v[14:15] op_sel_hi:[1,0,1] neg_lo:[0,0,1] neg_hi:[0,0,1]
	v_mov_b32_e32 v19, v13
	v_pk_fma_f32 v[22:23], v[70:71], 2.0, v[16:17] op_sel_hi:[1,0,1] neg_lo:[0,0,1] neg_hi:[0,0,1]
	v_pk_fma_f32 v[14:15], v[14:15], 2.0, v[24:25] op_sel_hi:[1,0,1] neg_lo:[0,0,1] neg_hi:[0,0,1]
	;; [unrolled: 1-line block ×3, first 2 shown]
	s_mov_b32 s2, 0x3f3504f3
	v_pk_add_f32 v[10:11], v[8:9], v[10:11] neg_lo:[0,1] neg_hi:[0,1]
	v_pk_add_f32 v[20:21], v[22:23], v[20:21] neg_lo:[0,1] neg_hi:[0,1]
	v_pk_mul_f32 v[16:17], v[12:13], s[2:3] op_sel_hi:[1,0]
	v_pk_fma_f32 v[12:13], v[12:13], s[2:3], v[14:15] op_sel_hi:[1,0,1] neg_lo:[1,0,0] neg_hi:[1,0,0]
	v_pk_fma_f32 v[8:9], v[8:9], 2.0, v[10:11] op_sel_hi:[1,0,1] neg_lo:[0,0,1] neg_hi:[0,0,1]
	v_pk_fma_f32 v[22:23], v[22:23], 2.0, v[20:21] op_sel_hi:[1,0,1] neg_lo:[0,0,1] neg_hi:[0,0,1]
	v_pk_add_f32 v[26:27], v[12:13], v[16:17] op_sel:[0,1] op_sel_hi:[1,0]
	v_pk_add_f32 v[12:13], v[12:13], v[16:17] op_sel:[0,1] op_sel_hi:[1,0] neg_lo:[0,1] neg_hi:[0,1]
	v_pk_add_f32 v[22:23], v[8:9], v[22:23] neg_lo:[0,1] neg_hi:[0,1]
	v_mov_b32_e32 v27, v13
	v_pk_fma_f32 v[8:9], v[8:9], 2.0, v[22:23] op_sel_hi:[1,0,1] neg_lo:[0,0,1] neg_hi:[0,0,1]
	v_pk_fma_f32 v[12:13], v[14:15], 2.0, v[26:27] op_sel_hi:[1,0,1] neg_lo:[0,0,1] neg_hi:[0,0,1]
	ds_write2_b64 v86, v[8:9], v[12:13] offset1:221
	v_pk_add_f32 v[8:9], v[10:11], v[20:21] op_sel:[0,1] op_sel_hi:[1,0]
	v_pk_add_f32 v[12:13], v[10:11], v[20:21] op_sel:[0,1] op_sel_hi:[1,0] neg_lo:[0,1] neg_hi:[0,1]
	v_pk_fma_f32 v[14:15], v[18:19], s[2:3], v[24:25] op_sel_hi:[1,0,1]
	v_mov_b32_e32 v9, v13
	v_pk_mul_f32 v[12:13], v[18:19], s[2:3] op_sel_hi:[1,0]
	v_pk_fma_f32 v[10:11], v[10:11], 2.0, v[8:9] op_sel_hi:[1,0,1] neg_lo:[0,0,1] neg_hi:[0,0,1]
	v_pk_add_f32 v[16:17], v[14:15], v[12:13] op_sel:[0,1] op_sel_hi:[1,0]
	v_pk_add_f32 v[12:13], v[14:15], v[12:13] op_sel:[0,1] op_sel_hi:[1,0] neg_lo:[0,1] neg_hi:[0,1]
	s_nop 0
	v_mov_b32_e32 v17, v13
	v_pk_fma_f32 v[12:13], v[24:25], 2.0, v[16:17] op_sel_hi:[1,0,1] neg_lo:[0,0,1] neg_hi:[0,0,1]
	ds_write2_b64 v66, v[10:11], v[12:13] offset0:26 offset1:247
	ds_write2_b64 v67, v[22:23], v[26:27] offset0:20 offset1:241
	;; [unrolled: 1-line block ×3, first 2 shown]
	s_and_saveexec_b64 s[10:11], s[0:1]
	s_cbranch_execz .LBB0_23
; %bb.22:
	v_pk_mul_f32 v[10:11], v[38:39], v[0:1] op_sel:[0,1]
	v_pk_mul_f32 v[12:13], v[90:91], v[48:49] op_sel:[0,1]
	v_pk_fma_f32 v[22:23], v[38:39], v[0:1], v[10:11] op_sel:[0,0,1] op_sel_hi:[1,1,0]
	v_pk_fma_f32 v[0:1], v[38:39], v[0:1], v[10:11] op_sel:[0,0,1] op_sel_hi:[1,0,0] neg_lo:[1,0,0] neg_hi:[1,0,0]
	v_pk_mul_f32 v[8:9], v[46:47], v[54:55] op_sel:[0,1]
	v_mov_b32_e32 v23, v1
	v_pk_fma_f32 v[0:1], v[90:91], v[48:49], v[12:13] op_sel:[0,0,1] op_sel_hi:[1,1,0]
	v_pk_fma_f32 v[10:11], v[90:91], v[48:49], v[12:13] op_sel:[0,0,1] op_sel_hi:[1,0,0] neg_lo:[1,0,0] neg_hi:[1,0,0]
	v_pk_mul_f32 v[18:19], v[44:45], v[2:3] op_sel:[0,1]
	v_mov_b32_e32 v1, v11
	;; [unrolled: 4-line block ×3, first 2 shown]
	v_pk_add_f32 v[8:9], v[4:5], v[10:11] neg_lo:[0,1] neg_hi:[0,1]
	v_pk_fma_f32 v[10:11], v[44:45], v[2:3], v[18:19] op_sel:[0,0,1] op_sel_hi:[1,1,0]
	v_pk_fma_f32 v[2:3], v[44:45], v[2:3], v[18:19] op_sel:[0,0,1] op_sel_hi:[1,0,0] neg_lo:[1,0,0] neg_hi:[1,0,0]
	v_pk_mul_f32 v[14:15], v[36:37], v[6:7] op_sel:[0,1]
	v_mov_b32_e32 v11, v3
	v_pk_fma_f32 v[2:3], v[254:255], v[50:51], v[20:21] op_sel:[0,0,1] op_sel_hi:[1,1,0]
	v_pk_fma_f32 v[12:13], v[254:255], v[50:51], v[20:21] op_sel:[0,0,1] op_sel_hi:[1,0,0] neg_lo:[1,0,0] neg_hi:[1,0,0]
	v_pk_mul_f32 v[16:17], v[88:89], v[56:57] op_sel:[0,1]
	v_mov_b32_e32 v3, v13
	v_pk_fma_f32 v[12:13], v[36:37], v[6:7], v[14:15] op_sel:[0,0,1] op_sel_hi:[1,1,0]
	v_pk_fma_f32 v[6:7], v[36:37], v[6:7], v[14:15] op_sel:[0,0,1] op_sel_hi:[1,0,0] neg_lo:[1,0,0] neg_hi:[1,0,0]
	v_pk_fma_f32 v[14:15], v[88:89], v[56:57], v[16:17] op_sel:[0,0,1] op_sel_hi:[1,0,0] neg_lo:[1,0,0] neg_hi:[1,0,0]
	v_mov_b32_e32 v13, v7
	v_pk_fma_f32 v[6:7], v[88:89], v[56:57], v[16:17] op_sel:[0,0,1] op_sel_hi:[1,1,0]
	v_pk_add_f32 v[0:1], v[22:23], v[0:1] neg_lo:[0,1] neg_hi:[0,1]
	v_mov_b32_e32 v7, v15
	v_pk_add_f32 v[2:3], v[10:11], v[2:3] neg_lo:[0,1] neg_hi:[0,1]
	v_pk_add_f32 v[6:7], v[12:13], v[6:7] neg_lo:[0,1] neg_hi:[0,1]
	v_pk_fma_f32 v[14:15], v[22:23], 2.0, v[0:1] op_sel_hi:[1,0,1] neg_lo:[0,0,1] neg_hi:[0,0,1]
	v_pk_add_f32 v[16:17], v[8:9], v[0:1] op_sel:[0,1] op_sel_hi:[1,0]
	v_pk_add_f32 v[0:1], v[8:9], v[0:1] op_sel:[0,1] op_sel_hi:[1,0] neg_lo:[0,1] neg_hi:[0,1]
	v_pk_fma_f32 v[10:11], v[10:11], 2.0, v[2:3] op_sel_hi:[1,0,1] neg_lo:[0,0,1] neg_hi:[0,0,1]
	v_mov_b32_e32 v17, v1
	v_pk_add_f32 v[0:1], v[6:7], v[2:3] op_sel:[0,1] op_sel_hi:[1,0]
	v_pk_add_f32 v[2:3], v[6:7], v[2:3] op_sel:[0,1] op_sel_hi:[1,0] neg_lo:[0,1] neg_hi:[0,1]
	v_pk_fma_f32 v[4:5], v[4:5], 2.0, v[8:9] op_sel_hi:[1,0,1] neg_lo:[0,0,1] neg_hi:[0,0,1]
	v_mov_b32_e32 v1, v3
	v_pk_fma_f32 v[12:13], v[12:13], 2.0, v[6:7] op_sel_hi:[1,0,1] neg_lo:[0,0,1] neg_hi:[0,0,1]
	v_pk_fma_f32 v[2:3], v[6:7], 2.0, v[0:1] op_sel_hi:[1,0,1] neg_lo:[0,0,1] neg_hi:[0,0,1]
	;; [unrolled: 1-line block ×3, first 2 shown]
	v_pk_add_f32 v[14:15], v[4:5], v[14:15] neg_lo:[0,1] neg_hi:[0,1]
	v_pk_add_f32 v[10:11], v[12:13], v[10:11] neg_lo:[0,1] neg_hi:[0,1]
	v_pk_mul_f32 v[6:7], v[2:3], s[2:3] op_sel_hi:[1,0]
	v_pk_fma_f32 v[2:3], v[2:3], s[2:3], v[8:9] op_sel_hi:[1,0,1] neg_lo:[1,0,0] neg_hi:[1,0,0]
	v_pk_fma_f32 v[4:5], v[4:5], 2.0, v[14:15] op_sel_hi:[1,0,1] neg_lo:[0,0,1] neg_hi:[0,0,1]
	v_pk_fma_f32 v[12:13], v[12:13], 2.0, v[10:11] op_sel_hi:[1,0,1] neg_lo:[0,0,1] neg_hi:[0,0,1]
	v_pk_add_f32 v[18:19], v[2:3], v[6:7] op_sel:[0,1] op_sel_hi:[1,0]
	v_pk_add_f32 v[2:3], v[2:3], v[6:7] op_sel:[0,1] op_sel_hi:[1,0] neg_lo:[0,1] neg_hi:[0,1]
	v_pk_add_f32 v[12:13], v[4:5], v[12:13] neg_lo:[0,1] neg_hi:[0,1]
	v_mov_b32_e32 v19, v3
	v_pk_fma_f32 v[4:5], v[4:5], 2.0, v[12:13] op_sel_hi:[1,0,1] neg_lo:[0,0,1] neg_hi:[0,0,1]
	v_pk_fma_f32 v[2:3], v[8:9], 2.0, v[18:19] op_sel_hi:[1,0,1] neg_lo:[0,0,1] neg_hi:[0,0,1]
	v_add_u32_e32 v6, 0x400, v86
	ds_write2_b64 v6, v[4:5], v[2:3] offset0:8 offset1:229
	v_pk_mul_f32 v[6:7], v[0:1], s[2:3] op_sel_hi:[1,0]
	v_pk_fma_f32 v[0:1], v[0:1], s[2:3], v[16:17] op_sel_hi:[1,0,1]
	v_pk_add_f32 v[2:3], v[14:15], v[10:11] op_sel:[0,1] op_sel_hi:[1,0]
	v_pk_add_f32 v[4:5], v[14:15], v[10:11] op_sel:[0,1] op_sel_hi:[1,0] neg_lo:[0,1] neg_hi:[0,1]
	v_pk_add_f32 v[8:9], v[0:1], v[6:7] op_sel:[0,1] op_sel_hi:[1,0]
	v_pk_add_f32 v[0:1], v[0:1], v[6:7] op_sel:[0,1] op_sel_hi:[1,0] neg_lo:[0,1] neg_hi:[0,1]
	v_mov_b32_e32 v3, v5
	v_mov_b32_e32 v9, v1
	v_pk_fma_f32 v[4:5], v[14:15], 2.0, v[2:3] op_sel_hi:[1,0,1] neg_lo:[0,0,1] neg_hi:[0,0,1]
	v_pk_fma_f32 v[0:1], v[16:17], 2.0, v[8:9] op_sel_hi:[1,0,1] neg_lo:[0,0,1] neg_hi:[0,0,1]
	v_add_u32_e32 v6, 0x1200, v86
	ds_write2_b64 v6, v[4:5], v[0:1] offset0:2 offset1:223
	v_add_u32_e32 v0, 0x1f00, v86
	ds_write2_b64 v0, v[12:13], v[18:19] offset0:28 offset1:249
	;; [unrolled: 2-line block ×3, first 2 shown]
.LBB0_23:
	s_or_b64 exec, exec, s[10:11]
	s_waitcnt lgkmcnt(0)
	s_barrier
	s_and_b64 exec, exec, vcc
	s_cbranch_execz .LBB0_25
; %bb.24:
	global_load_dwordx2 v[2:3], v86, s[8:9]
	ds_read_b64 v[4:5], v86
	v_mad_u64_u32 v[6:7], s[0:1], s6, v248, 0
	v_mad_u64_u32 v[8:9], s[2:3], s4, v244, 0
	v_mov_b32_e32 v10, v7
	v_mov_b32_e32 v12, v9
	v_mad_u64_u32 v[10:11], s[2:3], s7, v248, v[10:11]
	v_mov_b32_e32 v0, s12
	v_mov_b32_e32 v1, s13
	;; [unrolled: 3-line block ×3, first 2 shown]
	v_lshl_add_u64 v[0:1], v[6:7], 3, v[0:1]
	v_lshl_add_u64 v[6:7], v[8:9], 3, v[0:1]
	s_mov_b32 s0, 0x1288b013
	s_mov_b32 s1, 0x3f4288b0
	v_mov_b32_e32 v14, 0x340
	s_mul_i32 s2, s5, 0x340
	v_mov_b32_e32 v87, 0
	s_movk_i32 s3, 0x1000
	s_waitcnt vmcnt(0) lgkmcnt(0)
	v_mul_f32_e32 v8, v5, v3
	v_mul_f32_e32 v3, v4, v3
	v_fmac_f32_e32 v8, v4, v2
	v_fma_f32 v4, v2, v5, -v3
	v_cvt_f64_f32_e32 v[2:3], v8
	v_cvt_f64_f32_e32 v[4:5], v4
	v_mul_f64 v[2:3], v[2:3], s[0:1]
	v_mul_f64 v[4:5], v[4:5], s[0:1]
	v_cvt_f32_f64_e32 v2, v[2:3]
	v_cvt_f32_f64_e32 v3, v[4:5]
	global_store_dwordx2 v[6:7], v[2:3], off
	global_load_dwordx2 v[8:9], v86, s[8:9] offset:832
	ds_read2_b64 v[2:5], v86 offset0:104 offset1:208
	v_mad_u64_u32 v[6:7], s[6:7], s4, v14, v[6:7]
	v_add_u32_e32 v7, s2, v7
	s_waitcnt vmcnt(0) lgkmcnt(0)
	v_mul_f32_e32 v10, v3, v9
	v_mul_f32_e32 v9, v2, v9
	v_fmac_f32_e32 v10, v2, v8
	v_fma_f32 v8, v8, v3, -v9
	v_cvt_f64_f32_e32 v[2:3], v10
	v_cvt_f64_f32_e32 v[8:9], v8
	v_mul_f64 v[2:3], v[2:3], s[0:1]
	v_mul_f64 v[8:9], v[8:9], s[0:1]
	v_cvt_f32_f64_e32 v2, v[2:3]
	v_cvt_f32_f64_e32 v3, v[8:9]
	global_store_dwordx2 v[6:7], v[2:3], off
	global_load_dwordx2 v[2:3], v86, s[8:9] offset:1664
	v_mad_u64_u32 v[6:7], s[6:7], s4, v14, v[6:7]
	v_add_u32_e32 v7, s2, v7
	s_waitcnt vmcnt(0)
	v_mul_f32_e32 v8, v5, v3
	v_mul_f32_e32 v3, v4, v3
	v_fmac_f32_e32 v8, v4, v2
	v_fma_f32 v4, v2, v5, -v3
	v_cvt_f64_f32_e32 v[2:3], v8
	v_cvt_f64_f32_e32 v[4:5], v4
	v_mul_f64 v[2:3], v[2:3], s[0:1]
	v_mul_f64 v[4:5], v[4:5], s[0:1]
	v_cvt_f32_f64_e32 v2, v[2:3]
	v_cvt_f32_f64_e32 v3, v[4:5]
	global_store_dwordx2 v[6:7], v[2:3], off
	global_load_dwordx2 v[8:9], v86, s[8:9] offset:2496
	v_add_u32_e32 v2, 0x800, v86
	ds_read2_b64 v[2:5], v2 offset0:56 offset1:160
	v_mad_u64_u32 v[6:7], s[6:7], s4, v14, v[6:7]
	v_add_u32_e32 v7, s2, v7
	v_mad_u64_u32 v[12:13], s[6:7], s4, v14, v[6:7]
	v_add_u32_e32 v13, s2, v13
	s_waitcnt vmcnt(0) lgkmcnt(0)
	v_mul_f32_e32 v10, v3, v9
	v_mul_f32_e32 v9, v2, v9
	v_fmac_f32_e32 v10, v2, v8
	v_fma_f32 v8, v8, v3, -v9
	v_cvt_f64_f32_e32 v[2:3], v10
	v_cvt_f64_f32_e32 v[8:9], v8
	v_mul_f64 v[2:3], v[2:3], s[0:1]
	v_mul_f64 v[8:9], v[8:9], s[0:1]
	v_cvt_f32_f64_e32 v2, v[2:3]
	v_cvt_f32_f64_e32 v3, v[8:9]
	global_store_dwordx2 v[6:7], v[2:3], off
	global_load_dwordx2 v[8:9], v86, s[8:9] offset:3328
	v_lshl_add_u64 v[2:3], s[8:9], 0, v[86:87]
	v_add_co_u32_e32 v10, vcc, s3, v2
	s_movk_i32 s3, 0x2000
	s_nop 0
	v_addc_co_u32_e32 v11, vcc, 0, v3, vcc
	s_waitcnt vmcnt(0)
	v_mul_f32_e32 v6, v5, v9
	v_mul_f32_e32 v7, v4, v9
	v_fmac_f32_e32 v6, v4, v8
	v_fma_f32 v7, v8, v5, -v7
	v_cvt_f64_f32_e32 v[4:5], v6
	v_cvt_f64_f32_e32 v[6:7], v7
	v_mul_f64 v[4:5], v[4:5], s[0:1]
	v_mul_f64 v[6:7], v[6:7], s[0:1]
	v_cvt_f32_f64_e32 v4, v[4:5]
	v_cvt_f32_f64_e32 v5, v[6:7]
	global_store_dwordx2 v[12:13], v[4:5], off
	global_load_dwordx2 v[8:9], v[10:11], off offset:64
	v_add_u32_e32 v4, 0x1000, v86
	ds_read2_b64 v[4:7], v4 offset0:8 offset1:112
	v_mad_u64_u32 v[12:13], s[6:7], s4, v14, v[12:13]
	v_add_u32_e32 v13, s2, v13
	s_waitcnt vmcnt(0) lgkmcnt(0)
	v_mul_f32_e32 v15, v5, v9
	v_mul_f32_e32 v9, v4, v9
	v_fmac_f32_e32 v15, v4, v8
	v_fma_f32 v8, v8, v5, -v9
	v_cvt_f64_f32_e32 v[4:5], v15
	v_cvt_f64_f32_e32 v[8:9], v8
	v_mul_f64 v[4:5], v[4:5], s[0:1]
	v_mul_f64 v[8:9], v[8:9], s[0:1]
	v_cvt_f32_f64_e32 v4, v[4:5]
	v_cvt_f32_f64_e32 v5, v[8:9]
	global_store_dwordx2 v[12:13], v[4:5], off
	global_load_dwordx2 v[4:5], v[10:11], off offset:896
	v_mad_u64_u32 v[8:9], s[6:7], s4, v14, v[12:13]
	v_add_u32_e32 v9, s2, v9
	s_waitcnt vmcnt(0)
	v_mul_f32_e32 v12, v7, v5
	v_mul_f32_e32 v5, v6, v5
	v_fmac_f32_e32 v12, v6, v4
	v_fma_f32 v6, v4, v7, -v5
	v_cvt_f64_f32_e32 v[4:5], v12
	v_cvt_f64_f32_e32 v[6:7], v6
	v_mul_f64 v[4:5], v[4:5], s[0:1]
	v_mul_f64 v[6:7], v[6:7], s[0:1]
	v_cvt_f32_f64_e32 v4, v[4:5]
	v_cvt_f32_f64_e32 v5, v[6:7]
	global_store_dwordx2 v[8:9], v[4:5], off
	global_load_dwordx2 v[12:13], v[10:11], off offset:1728
	v_add_u32_e32 v4, 0x1400, v86
	ds_read2_b64 v[4:7], v4 offset0:88 offset1:192
	v_mad_u64_u32 v[8:9], s[6:7], s4, v14, v[8:9]
	v_add_u32_e32 v9, s2, v9
	s_waitcnt vmcnt(0) lgkmcnt(0)
	v_mul_f32_e32 v15, v5, v13
	v_mul_f32_e32 v13, v4, v13
	v_fmac_f32_e32 v15, v4, v12
	v_fma_f32 v12, v12, v5, -v13
	v_cvt_f64_f32_e32 v[4:5], v15
	v_cvt_f64_f32_e32 v[12:13], v12
	v_mul_f64 v[4:5], v[4:5], s[0:1]
	v_mul_f64 v[12:13], v[12:13], s[0:1]
	v_cvt_f32_f64_e32 v4, v[4:5]
	v_cvt_f32_f64_e32 v5, v[12:13]
	global_store_dwordx2 v[8:9], v[4:5], off
	global_load_dwordx2 v[4:5], v[10:11], off offset:2560
	v_mad_u64_u32 v[8:9], s[6:7], s4, v14, v[8:9]
	v_add_u32_e32 v9, s2, v9
	s_waitcnt vmcnt(0)
	v_mul_f32_e32 v12, v7, v5
	v_mul_f32_e32 v5, v6, v5
	v_fmac_f32_e32 v12, v6, v4
	v_fma_f32 v6, v4, v7, -v5
	v_cvt_f64_f32_e32 v[4:5], v12
	v_cvt_f64_f32_e32 v[6:7], v6
	v_mul_f64 v[4:5], v[4:5], s[0:1]
	v_mul_f64 v[6:7], v[6:7], s[0:1]
	v_cvt_f32_f64_e32 v4, v[4:5]
	v_cvt_f32_f64_e32 v5, v[6:7]
	global_store_dwordx2 v[8:9], v[4:5], off
	global_load_dwordx2 v[10:11], v[10:11], off offset:3392
	v_add_u32_e32 v4, 0x1c00, v86
	ds_read2_b64 v[4:7], v4 offset0:40 offset1:144
	v_mad_u64_u32 v[8:9], s[6:7], s4, v14, v[8:9]
	v_add_co_u32_e32 v12, vcc, s3, v2
	v_add_u32_e32 v9, s2, v9
	s_nop 0
	v_addc_co_u32_e32 v13, vcc, 0, v3, vcc
	s_movk_i32 s3, 0x3000
	v_add_co_u32_e32 v2, vcc, s3, v2
	s_waitcnt vmcnt(0) lgkmcnt(0)
	v_mul_f32_e32 v15, v5, v11
	v_mul_f32_e32 v11, v4, v11
	v_fmac_f32_e32 v15, v4, v10
	v_fma_f32 v10, v10, v5, -v11
	v_cvt_f64_f32_e32 v[4:5], v15
	v_cvt_f64_f32_e32 v[10:11], v10
	v_mul_f64 v[4:5], v[4:5], s[0:1]
	v_mul_f64 v[10:11], v[10:11], s[0:1]
	v_cvt_f32_f64_e32 v4, v[4:5]
	v_cvt_f32_f64_e32 v5, v[10:11]
	global_store_dwordx2 v[8:9], v[4:5], off
	global_load_dwordx2 v[4:5], v[12:13], off offset:128
	v_mad_u64_u32 v[8:9], s[6:7], s4, v14, v[8:9]
	v_add_u32_e32 v9, s2, v9
	v_addc_co_u32_e32 v3, vcc, 0, v3, vcc
	s_waitcnt vmcnt(0)
	v_mul_f32_e32 v10, v7, v5
	v_mul_f32_e32 v5, v6, v5
	v_fmac_f32_e32 v10, v6, v4
	v_fma_f32 v6, v4, v7, -v5
	v_cvt_f64_f32_e32 v[4:5], v10
	v_cvt_f64_f32_e32 v[6:7], v6
	v_mul_f64 v[4:5], v[4:5], s[0:1]
	v_mul_f64 v[6:7], v[6:7], s[0:1]
	v_cvt_f32_f64_e32 v4, v[4:5]
	v_cvt_f32_f64_e32 v5, v[6:7]
	global_store_dwordx2 v[8:9], v[4:5], off
	global_load_dwordx2 v[10:11], v[12:13], off offset:960
	v_add_u32_e32 v4, 0x2000, v86
	ds_read2_b64 v[4:7], v4 offset0:120 offset1:224
	v_mad_u64_u32 v[8:9], s[6:7], s4, v14, v[8:9]
	v_add_u32_e32 v9, s2, v9
	s_waitcnt vmcnt(0) lgkmcnt(0)
	v_mul_f32_e32 v15, v5, v11
	v_mul_f32_e32 v11, v4, v11
	v_fmac_f32_e32 v15, v4, v10
	v_fma_f32 v10, v10, v5, -v11
	v_cvt_f64_f32_e32 v[4:5], v15
	v_cvt_f64_f32_e32 v[10:11], v10
	v_mul_f64 v[4:5], v[4:5], s[0:1]
	v_mul_f64 v[10:11], v[10:11], s[0:1]
	v_cvt_f32_f64_e32 v4, v[4:5]
	v_cvt_f32_f64_e32 v5, v[10:11]
	global_store_dwordx2 v[8:9], v[4:5], off
	global_load_dwordx2 v[4:5], v[12:13], off offset:1792
	v_mad_u64_u32 v[8:9], s[6:7], s4, v14, v[8:9]
	v_add_u32_e32 v9, s2, v9
	s_waitcnt vmcnt(0)
	v_mul_f32_e32 v10, v7, v5
	v_mul_f32_e32 v5, v6, v5
	v_fmac_f32_e32 v10, v6, v4
	v_fma_f32 v6, v4, v7, -v5
	v_cvt_f64_f32_e32 v[4:5], v10
	v_cvt_f64_f32_e32 v[6:7], v6
	v_mul_f64 v[4:5], v[4:5], s[0:1]
	v_mul_f64 v[6:7], v[6:7], s[0:1]
	v_cvt_f32_f64_e32 v4, v[4:5]
	v_cvt_f32_f64_e32 v5, v[6:7]
	global_store_dwordx2 v[8:9], v[4:5], off
	global_load_dwordx2 v[10:11], v[12:13], off offset:2624
	v_add_u32_e32 v4, 0x2800, v86
	ds_read2_b64 v[4:7], v4 offset0:72 offset1:176
	v_mad_u64_u32 v[8:9], s[6:7], s4, v14, v[8:9]
	v_add_u32_e32 v9, s2, v9
	s_waitcnt vmcnt(0) lgkmcnt(0)
	v_mul_f32_e32 v15, v5, v11
	v_mul_f32_e32 v11, v4, v11
	v_fmac_f32_e32 v15, v4, v10
	v_fma_f32 v10, v10, v5, -v11
	v_cvt_f64_f32_e32 v[4:5], v15
	v_cvt_f64_f32_e32 v[10:11], v10
	v_mul_f64 v[4:5], v[4:5], s[0:1]
	v_mul_f64 v[10:11], v[10:11], s[0:1]
	v_cvt_f32_f64_e32 v4, v[4:5]
	v_cvt_f32_f64_e32 v5, v[10:11]
	global_store_dwordx2 v[8:9], v[4:5], off
	global_load_dwordx2 v[4:5], v[12:13], off offset:3456
	v_mad_u64_u32 v[8:9], s[6:7], s4, v14, v[8:9]
	v_add_u32_e32 v9, s2, v9
	s_waitcnt vmcnt(0)
	v_mul_f32_e32 v10, v7, v5
	v_mul_f32_e32 v5, v6, v5
	v_fmac_f32_e32 v10, v6, v4
	v_fma_f32 v6, v4, v7, -v5
	v_cvt_f64_f32_e32 v[4:5], v10
	v_cvt_f64_f32_e32 v[6:7], v6
	v_mul_f64 v[4:5], v[4:5], s[0:1]
	v_mul_f64 v[6:7], v[6:7], s[0:1]
	v_cvt_f32_f64_e32 v4, v[4:5]
	v_cvt_f32_f64_e32 v5, v[6:7]
	global_store_dwordx2 v[8:9], v[4:5], off
	global_load_dwordx2 v[6:7], v[2:3], off offset:192
	v_add_u32_e32 v2, 0x3000, v86
	ds_read2_b64 v[2:5], v2 offset0:24 offset1:128
	v_mad_u64_u32 v[8:9], s[6:7], s4, v14, v[8:9]
	v_or_b32_e32 v10, 0x680, v244
	v_add_u32_e32 v9, s2, v9
	v_lshlrev_b32_e32 v11, 3, v10
	s_waitcnt vmcnt(0) lgkmcnt(0)
	v_mul_f32_e32 v12, v3, v7
	v_mul_f32_e32 v7, v2, v7
	v_fmac_f32_e32 v12, v2, v6
	v_fma_f32 v6, v6, v3, -v7
	v_cvt_f64_f32_e32 v[2:3], v12
	v_cvt_f64_f32_e32 v[6:7], v6
	v_mul_f64 v[2:3], v[2:3], s[0:1]
	v_mul_f64 v[6:7], v[6:7], s[0:1]
	v_cvt_f32_f64_e32 v2, v[2:3]
	v_cvt_f32_f64_e32 v3, v[6:7]
	global_store_dwordx2 v[8:9], v[2:3], off
	global_load_dwordx2 v[2:3], v11, s[8:9]
	v_mad_u64_u32 v[6:7], s[2:3], s4, v10, 0
	v_mov_b32_e32 v8, v7
	v_mad_u64_u32 v[8:9], s[2:3], s5, v10, v[8:9]
	v_mov_b32_e32 v7, v8
	v_lshl_add_u64 v[0:1], v[6:7], 3, v[0:1]
	s_waitcnt vmcnt(0)
	v_mul_f32_e32 v8, v5, v3
	v_mul_f32_e32 v3, v4, v3
	v_fmac_f32_e32 v8, v4, v2
	v_fma_f32 v4, v2, v5, -v3
	v_cvt_f64_f32_e32 v[2:3], v8
	v_cvt_f64_f32_e32 v[4:5], v4
	v_mul_f64 v[2:3], v[2:3], s[0:1]
	v_mul_f64 v[4:5], v[4:5], s[0:1]
	v_cvt_f32_f64_e32 v2, v[2:3]
	v_cvt_f32_f64_e32 v3, v[4:5]
	global_store_dwordx2 v[0:1], v[2:3], off
.LBB0_25:
	s_endpgm
	.section	.rodata,"a",@progbits
	.p2align	6, 0x0
	.amdhsa_kernel bluestein_single_fwd_len1768_dim1_sp_op_CI_CI
		.amdhsa_group_segment_fixed_size 14144
		.amdhsa_private_segment_fixed_size 0
		.amdhsa_kernarg_size 104
		.amdhsa_user_sgpr_count 2
		.amdhsa_user_sgpr_dispatch_ptr 0
		.amdhsa_user_sgpr_queue_ptr 0
		.amdhsa_user_sgpr_kernarg_segment_ptr 1
		.amdhsa_user_sgpr_dispatch_id 0
		.amdhsa_user_sgpr_kernarg_preload_length 0
		.amdhsa_user_sgpr_kernarg_preload_offset 0
		.amdhsa_user_sgpr_private_segment_size 0
		.amdhsa_uses_dynamic_stack 0
		.amdhsa_enable_private_segment 0
		.amdhsa_system_sgpr_workgroup_id_x 1
		.amdhsa_system_sgpr_workgroup_id_y 0
		.amdhsa_system_sgpr_workgroup_id_z 0
		.amdhsa_system_sgpr_workgroup_info 0
		.amdhsa_system_vgpr_workitem_id 0
		.amdhsa_next_free_vgpr 296
		.amdhsa_next_free_sgpr 74
		.amdhsa_accum_offset 256
		.amdhsa_reserve_vcc 1
		.amdhsa_float_round_mode_32 0
		.amdhsa_float_round_mode_16_64 0
		.amdhsa_float_denorm_mode_32 3
		.amdhsa_float_denorm_mode_16_64 3
		.amdhsa_dx10_clamp 1
		.amdhsa_ieee_mode 1
		.amdhsa_fp16_overflow 0
		.amdhsa_tg_split 0
		.amdhsa_exception_fp_ieee_invalid_op 0
		.amdhsa_exception_fp_denorm_src 0
		.amdhsa_exception_fp_ieee_div_zero 0
		.amdhsa_exception_fp_ieee_overflow 0
		.amdhsa_exception_fp_ieee_underflow 0
		.amdhsa_exception_fp_ieee_inexact 0
		.amdhsa_exception_int_div_zero 0
	.end_amdhsa_kernel
	.text
.Lfunc_end0:
	.size	bluestein_single_fwd_len1768_dim1_sp_op_CI_CI, .Lfunc_end0-bluestein_single_fwd_len1768_dim1_sp_op_CI_CI
                                        ; -- End function
	.section	.AMDGPU.csdata,"",@progbits
; Kernel info:
; codeLenInByte = 22788
; NumSgprs: 80
; NumVgprs: 256
; NumAgprs: 40
; TotalNumVgprs: 296
; ScratchSize: 0
; MemoryBound: 0
; FloatMode: 240
; IeeeMode: 1
; LDSByteSize: 14144 bytes/workgroup (compile time only)
; SGPRBlocks: 9
; VGPRBlocks: 36
; NumSGPRsForWavesPerEU: 80
; NumVGPRsForWavesPerEU: 296
; AccumOffset: 256
; Occupancy: 1
; WaveLimiterHint : 1
; COMPUTE_PGM_RSRC2:SCRATCH_EN: 0
; COMPUTE_PGM_RSRC2:USER_SGPR: 2
; COMPUTE_PGM_RSRC2:TRAP_HANDLER: 0
; COMPUTE_PGM_RSRC2:TGID_X_EN: 1
; COMPUTE_PGM_RSRC2:TGID_Y_EN: 0
; COMPUTE_PGM_RSRC2:TGID_Z_EN: 0
; COMPUTE_PGM_RSRC2:TIDIG_COMP_CNT: 0
; COMPUTE_PGM_RSRC3_GFX90A:ACCUM_OFFSET: 63
; COMPUTE_PGM_RSRC3_GFX90A:TG_SPLIT: 0
	.text
	.p2alignl 6, 3212836864
	.fill 256, 4, 3212836864
	.type	__hip_cuid_873d83a864f2a86e,@object ; @__hip_cuid_873d83a864f2a86e
	.section	.bss,"aw",@nobits
	.globl	__hip_cuid_873d83a864f2a86e
__hip_cuid_873d83a864f2a86e:
	.byte	0                               ; 0x0
	.size	__hip_cuid_873d83a864f2a86e, 1

	.ident	"AMD clang version 19.0.0git (https://github.com/RadeonOpenCompute/llvm-project roc-6.4.0 25133 c7fe45cf4b819c5991fe208aaa96edf142730f1d)"
	.section	".note.GNU-stack","",@progbits
	.addrsig
	.addrsig_sym __hip_cuid_873d83a864f2a86e
	.amdgpu_metadata
---
amdhsa.kernels:
  - .agpr_count:     40
    .args:
      - .actual_access:  read_only
        .address_space:  global
        .offset:         0
        .size:           8
        .value_kind:     global_buffer
      - .actual_access:  read_only
        .address_space:  global
        .offset:         8
        .size:           8
        .value_kind:     global_buffer
      - .actual_access:  read_only
        .address_space:  global
        .offset:         16
        .size:           8
        .value_kind:     global_buffer
      - .actual_access:  read_only
        .address_space:  global
        .offset:         24
        .size:           8
        .value_kind:     global_buffer
      - .actual_access:  read_only
        .address_space:  global
        .offset:         32
        .size:           8
        .value_kind:     global_buffer
      - .offset:         40
        .size:           8
        .value_kind:     by_value
      - .address_space:  global
        .offset:         48
        .size:           8
        .value_kind:     global_buffer
      - .address_space:  global
        .offset:         56
        .size:           8
        .value_kind:     global_buffer
      - .address_space:  global
        .offset:         64
        .size:           8
        .value_kind:     global_buffer
      - .address_space:  global
        .offset:         72
        .size:           8
        .value_kind:     global_buffer
      - .offset:         80
        .size:           4
        .value_kind:     by_value
      - .address_space:  global
        .offset:         88
        .size:           8
        .value_kind:     global_buffer
      - .address_space:  global
        .offset:         96
        .size:           8
        .value_kind:     global_buffer
    .group_segment_fixed_size: 14144
    .kernarg_segment_align: 8
    .kernarg_segment_size: 104
    .language:       OpenCL C
    .language_version:
      - 2
      - 0
    .max_flat_workgroup_size: 136
    .name:           bluestein_single_fwd_len1768_dim1_sp_op_CI_CI
    .private_segment_fixed_size: 0
    .sgpr_count:     80
    .sgpr_spill_count: 0
    .symbol:         bluestein_single_fwd_len1768_dim1_sp_op_CI_CI.kd
    .uniform_work_group_size: 1
    .uses_dynamic_stack: false
    .vgpr_count:     296
    .vgpr_spill_count: 0
    .wavefront_size: 64
amdhsa.target:   amdgcn-amd-amdhsa--gfx950
amdhsa.version:
  - 1
  - 2
...

	.end_amdgpu_metadata
